;; amdgpu-corpus repo=ggml-org/llama.cpp kind=compiled arch=gfx1250 opt=O3
	.amdgcn_target "amdgcn-amd-amdhsa--gfx1250"
	.amdhsa_code_object_version 6
	.section	.text._ZL16k_get_rows_floatI6__halffEvPKT_PKiPT0_ll15HIP_vector_typeIjLj3EEmmmmmmmmm,"axG",@progbits,_ZL16k_get_rows_floatI6__halffEvPKT_PKiPT0_ll15HIP_vector_typeIjLj3EEmmmmmmmmm,comdat
	.globl	_ZL16k_get_rows_floatI6__halffEvPKT_PKiPT0_ll15HIP_vector_typeIjLj3EEmmmmmmmmm ; -- Begin function _ZL16k_get_rows_floatI6__halffEvPKT_PKiPT0_ll15HIP_vector_typeIjLj3EEmmmmmmmmm
	.p2align	8
	.type	_ZL16k_get_rows_floatI6__halffEvPKT_PKiPT0_ll15HIP_vector_typeIjLj3EEmmmmmmmmm,@function
_ZL16k_get_rows_floatI6__halffEvPKT_PKiPT0_ll15HIP_vector_typeIjLj3EEmmmmmmmmm: ; @_ZL16k_get_rows_floatI6__halffEvPKT_PKiPT0_ll15HIP_vector_typeIjLj3EEmmmmmmmmm
; %bb.0:
	s_clause 0x1
	s_load_b64 s[2:3], s[0:1], 0x2c
	s_load_b64 s[4:5], s[0:1], 0x20
	s_bfe_u32 s6, ttmp6, 0x40014
	s_lshr_b32 s8, ttmp7, 16
	s_add_co_i32 s6, s6, 1
	s_bfe_u32 s7, ttmp6, 0x40008
	s_mul_i32 s6, s8, s6
	s_mov_b32 s29, 0
	s_getreg_b32 s39, hwreg(HW_REG_IB_STS2, 6, 4)
	s_add_co_i32 s9, s7, s6
	s_cmp_eq_u32 s39, 0
	s_mov_b32 s7, s29
	s_cselect_b32 s28, s8, s9
	s_wait_kmcnt 0x0
	s_mov_b32 s6, s3
	s_delay_alu instid0(SALU_CYCLE_1) | instskip(NEXT) | instid1(SALU_CYCLE_1)
	s_mul_u64 s[30:31], s[4:5], s[6:7]
	v_cmp_le_i64_e64 s4, s[30:31], s[28:29]
	s_and_b32 vcc_lo, exec_lo, s4
	s_cbranch_vccnz .LBB0_6
; %bb.1:
	s_clause 0x4
	s_load_b64 s[34:35], s[0:1], 0x88
	s_load_b64 s[36:37], s[0:1], 0x78
	s_load_b256 s[20:27], s[0:1], 0x0
	s_load_b32 s38, s[0:1], 0x28
	s_load_b512 s[4:19], s[0:1], 0x38
	s_bfe_u32 s40, ttmp6, 0x4000c
	s_bfe_u32 s42, ttmp6, 0x40010
	s_and_b32 s41, ttmp7, 0xffff
	s_add_co_i32 s40, s40, 1
	s_add_co_i32 s42, s42, 1
	s_and_b32 s33, ttmp6, 15
	s_bfe_u32 s43, ttmp6, 0x40004
	s_mul_i32 s40, ttmp9, s40
	s_mul_i32 s42, s41, s42
	s_add_co_i32 s44, s33, s40
	s_add_co_i32 s43, s43, s42
	v_mov_b32_e32 v1, 0
	s_wait_kmcnt 0x0
	s_and_b32 s33, s35, 0xffff
	s_cmp_eq_u32 s39, 0
	s_mov_b32 s39, s29
	s_cselect_b32 s35, s41, s43
	s_add_nc_u64 s[40:41], s[0:1], 0x80
	v_mad_u32 v0, s35, s33, v0
	s_cselect_b32 s0, ttmp9, s44
	s_mov_b32 s35, s29
	s_ashr_i32 s1, s0, 31
	s_lshl_b64 s[6:7], s[6:7], 2
	s_mul_u64 s[16:17], s[16:17], s[0:1]
	s_mul_u64 s[0:1], s[4:5], s[0:1]
	s_lshl_b64 s[4:5], s[16:17], 2
	s_lshl_b64 s[0:1], s[0:1], 2
	s_add_nc_u64 s[4:5], s[22:23], s[4:5]
	s_add_nc_u64 s[22:23], s[24:25], s[0:1]
	v_cmp_gt_i64_e64 s0, s[26:27], v[0:1]
	v_lshl_add_u64 v[2:3], v[0:1], 2, s[22:23]
	v_lshl_add_u64 v[4:5], v[0:1], 1, s[20:21]
	s_mov_b64 s[16:17], 0xffffffff
	s_lshl_b64 s[8:9], s[8:9], 2
	s_mov_b64 s[20:21], s[28:29]
	s_branch .LBB0_3
.LBB0_2:                                ;   in Loop: Header=BB0_3 Depth=1
	s_or_b32 exec_lo, exec_lo, s1
	s_add_nc_u64 s[20:21], s[20:21], s[34:35]
	s_delay_alu instid0(SALU_CYCLE_1)
	v_cmp_lt_i64_e64 s1, s[20:21], s[30:31]
	s_and_b32 vcc_lo, exec_lo, s1
	s_cbranch_vccz .LBB0_6
.LBB0_3:                                ; =>This Loop Header: Depth=1
                                        ;     Child Loop BB0_5 Depth 2
	s_and_saveexec_b32 s1, s0
	s_cbranch_execz .LBB0_2
; %bb.4:                                ;   in Loop: Header=BB0_3 Depth=1
	s_and_b64 s[22:23], s[20:21], s[16:17]
	v_mov_b64_e32 v[10:11], v[0:1]
	s_mul_u64 s[22:23], s[22:23], s[38:39]
	s_delay_alu instid0(SALU_CYCLE_1) | instskip(NEXT) | instid1(SALU_CYCLE_1)
	s_add_co_i32 s22, s23, s20
	s_lshr_b32 s22, s22, s2
	s_delay_alu instid0(SALU_CYCLE_1)
	s_mul_i32 s24, s22, s3
	s_ashr_i32 s23, s22, 31
	s_sub_co_i32 s24, s20, s24
	s_mul_u64 s[42:43], s[18:19], s[22:23]
	s_ashr_i32 s25, s24, 31
	s_lshl_b64 s[42:43], s[42:43], 2
	s_mul_u64 s[44:45], s[36:37], s[24:25]
	s_add_nc_u64 s[42:43], s[4:5], s[42:43]
	s_lshl_b64 s[44:45], s[44:45], 2
	s_mul_u64 s[46:47], s[8:9], s[24:25]
	s_add_nc_u64 s[42:43], s[42:43], s[44:45]
	s_mul_u64 s[24:25], s[14:15], s[24:25]
	s_load_b32 s44, s[42:43], 0x0
	s_load_b32 s28, s[40:41], 0x4
	s_wait_xcnt 0x0
	s_mul_u64 s[42:43], s[12:13], s[22:23]
	s_mul_u64 s[22:23], s[6:7], s[22:23]
	s_delay_alu instid0(SALU_CYCLE_1) | instskip(NEXT) | instid1(SALU_CYCLE_1)
	s_add_nc_u64 s[22:23], s[22:23], s[46:47]
	v_add_nc_u64_e32 v[6:7], s[22:23], v[2:3]
	s_wait_kmcnt 0x0
	s_ashr_i32 s45, s44, 31
	s_mul_i32 s28, s28, s33
	s_mul_u64 s[44:45], s[10:11], s[44:45]
	s_lshl_b64 s[22:23], s[28:29], 2
	s_add_nc_u64 s[42:43], s[42:43], s[44:45]
	s_delay_alu instid0(SALU_CYCLE_1)
	s_add_nc_u64 s[24:25], s[42:43], s[24:25]
	s_mov_b32 s42, 0
	v_add_nc_u64_e32 v[8:9], s[24:25], v[4:5]
	s_lshl_b64 s[24:25], s[28:29], 1
.LBB0_5:                                ;   Parent Loop BB0_3 Depth=1
                                        ; =>  This Inner Loop Header: Depth=2
	global_load_u16 v12, v[8:9], off
	v_add_nc_u64_e32 v[10:11], s[28:29], v[10:11]
	s_wait_xcnt 0x0
	v_add_nc_u64_e32 v[8:9], s[24:25], v[8:9]
	s_delay_alu instid0(VALU_DEP_2)
	v_cmp_le_i64_e32 vcc_lo, s[26:27], v[10:11]
	s_or_b32 s42, vcc_lo, s42
	s_wait_loadcnt 0x0
	v_cvt_f32_f16_e32 v12, v12
	global_store_b32 v[6:7], v12, off
	s_wait_xcnt 0x0
	v_add_nc_u64_e32 v[6:7], s[22:23], v[6:7]
	s_and_not1_b32 exec_lo, exec_lo, s42
	s_cbranch_execnz .LBB0_5
	s_branch .LBB0_2
.LBB0_6:
	s_endpgm
	.section	.rodata,"a",@progbits
	.p2align	6, 0x0
	.amdhsa_kernel _ZL16k_get_rows_floatI6__halffEvPKT_PKiPT0_ll15HIP_vector_typeIjLj3EEmmmmmmmmm
		.amdhsa_group_segment_fixed_size 0
		.amdhsa_private_segment_fixed_size 0
		.amdhsa_kernarg_size 384
		.amdhsa_user_sgpr_count 2
		.amdhsa_user_sgpr_dispatch_ptr 0
		.amdhsa_user_sgpr_queue_ptr 0
		.amdhsa_user_sgpr_kernarg_segment_ptr 1
		.amdhsa_user_sgpr_dispatch_id 0
		.amdhsa_user_sgpr_kernarg_preload_length 0
		.amdhsa_user_sgpr_kernarg_preload_offset 0
		.amdhsa_user_sgpr_private_segment_size 0
		.amdhsa_wavefront_size32 1
		.amdhsa_uses_dynamic_stack 0
		.amdhsa_enable_private_segment 0
		.amdhsa_system_sgpr_workgroup_id_x 1
		.amdhsa_system_sgpr_workgroup_id_y 1
		.amdhsa_system_sgpr_workgroup_id_z 1
		.amdhsa_system_sgpr_workgroup_info 0
		.amdhsa_system_vgpr_workitem_id 0
		.amdhsa_next_free_vgpr 13
		.amdhsa_next_free_sgpr 48
		.amdhsa_named_barrier_count 0
		.amdhsa_reserve_vcc 1
		.amdhsa_float_round_mode_32 0
		.amdhsa_float_round_mode_16_64 0
		.amdhsa_float_denorm_mode_32 3
		.amdhsa_float_denorm_mode_16_64 3
		.amdhsa_fp16_overflow 0
		.amdhsa_memory_ordered 1
		.amdhsa_forward_progress 1
		.amdhsa_inst_pref_size 5
		.amdhsa_round_robin_scheduling 0
		.amdhsa_exception_fp_ieee_invalid_op 0
		.amdhsa_exception_fp_denorm_src 0
		.amdhsa_exception_fp_ieee_div_zero 0
		.amdhsa_exception_fp_ieee_overflow 0
		.amdhsa_exception_fp_ieee_underflow 0
		.amdhsa_exception_fp_ieee_inexact 0
		.amdhsa_exception_int_div_zero 0
	.end_amdhsa_kernel
	.section	.text._ZL16k_get_rows_floatI6__halffEvPKT_PKiPT0_ll15HIP_vector_typeIjLj3EEmmmmmmmmm,"axG",@progbits,_ZL16k_get_rows_floatI6__halffEvPKT_PKiPT0_ll15HIP_vector_typeIjLj3EEmmmmmmmmm,comdat
.Lfunc_end0:
	.size	_ZL16k_get_rows_floatI6__halffEvPKT_PKiPT0_ll15HIP_vector_typeIjLj3EEmmmmmmmmm, .Lfunc_end0-_ZL16k_get_rows_floatI6__halffEvPKT_PKiPT0_ll15HIP_vector_typeIjLj3EEmmmmmmmmm
                                        ; -- End function
	.set _ZL16k_get_rows_floatI6__halffEvPKT_PKiPT0_ll15HIP_vector_typeIjLj3EEmmmmmmmmm.num_vgpr, 13
	.set _ZL16k_get_rows_floatI6__halffEvPKT_PKiPT0_ll15HIP_vector_typeIjLj3EEmmmmmmmmm.num_agpr, 0
	.set _ZL16k_get_rows_floatI6__halffEvPKT_PKiPT0_ll15HIP_vector_typeIjLj3EEmmmmmmmmm.numbered_sgpr, 48
	.set _ZL16k_get_rows_floatI6__halffEvPKT_PKiPT0_ll15HIP_vector_typeIjLj3EEmmmmmmmmm.num_named_barrier, 0
	.set _ZL16k_get_rows_floatI6__halffEvPKT_PKiPT0_ll15HIP_vector_typeIjLj3EEmmmmmmmmm.private_seg_size, 0
	.set _ZL16k_get_rows_floatI6__halffEvPKT_PKiPT0_ll15HIP_vector_typeIjLj3EEmmmmmmmmm.uses_vcc, 1
	.set _ZL16k_get_rows_floatI6__halffEvPKT_PKiPT0_ll15HIP_vector_typeIjLj3EEmmmmmmmmm.uses_flat_scratch, 0
	.set _ZL16k_get_rows_floatI6__halffEvPKT_PKiPT0_ll15HIP_vector_typeIjLj3EEmmmmmmmmm.has_dyn_sized_stack, 0
	.set _ZL16k_get_rows_floatI6__halffEvPKT_PKiPT0_ll15HIP_vector_typeIjLj3EEmmmmmmmmm.has_recursion, 0
	.set _ZL16k_get_rows_floatI6__halffEvPKT_PKiPT0_ll15HIP_vector_typeIjLj3EEmmmmmmmmm.has_indirect_call, 0
	.section	.AMDGPU.csdata,"",@progbits
; Kernel info:
; codeLenInByte = 612
; TotalNumSgprs: 50
; NumVgprs: 13
; ScratchSize: 0
; MemoryBound: 0
; FloatMode: 240
; IeeeMode: 1
; LDSByteSize: 0 bytes/workgroup (compile time only)
; SGPRBlocks: 0
; VGPRBlocks: 0
; NumSGPRsForWavesPerEU: 50
; NumVGPRsForWavesPerEU: 13
; NamedBarCnt: 0
; Occupancy: 16
; WaveLimiterHint : 1
; COMPUTE_PGM_RSRC2:SCRATCH_EN: 0
; COMPUTE_PGM_RSRC2:USER_SGPR: 2
; COMPUTE_PGM_RSRC2:TRAP_HANDLER: 0
; COMPUTE_PGM_RSRC2:TGID_X_EN: 1
; COMPUTE_PGM_RSRC2:TGID_Y_EN: 1
; COMPUTE_PGM_RSRC2:TGID_Z_EN: 1
; COMPUTE_PGM_RSRC2:TIDIG_COMP_CNT: 0
	.section	.text._ZL16k_get_rows_floatIffEvPKT_PKiPT0_ll15HIP_vector_typeIjLj3EEmmmmmmmmm,"axG",@progbits,_ZL16k_get_rows_floatIffEvPKT_PKiPT0_ll15HIP_vector_typeIjLj3EEmmmmmmmmm,comdat
	.globl	_ZL16k_get_rows_floatIffEvPKT_PKiPT0_ll15HIP_vector_typeIjLj3EEmmmmmmmmm ; -- Begin function _ZL16k_get_rows_floatIffEvPKT_PKiPT0_ll15HIP_vector_typeIjLj3EEmmmmmmmmm
	.p2align	8
	.type	_ZL16k_get_rows_floatIffEvPKT_PKiPT0_ll15HIP_vector_typeIjLj3EEmmmmmmmmm,@function
_ZL16k_get_rows_floatIffEvPKT_PKiPT0_ll15HIP_vector_typeIjLj3EEmmmmmmmmm: ; @_ZL16k_get_rows_floatIffEvPKT_PKiPT0_ll15HIP_vector_typeIjLj3EEmmmmmmmmm
; %bb.0:
	s_clause 0x1
	s_load_b64 s[2:3], s[0:1], 0x2c
	s_load_b64 s[4:5], s[0:1], 0x20
	s_bfe_u32 s6, ttmp6, 0x40014
	s_lshr_b32 s8, ttmp7, 16
	s_add_co_i32 s6, s6, 1
	s_bfe_u32 s7, ttmp6, 0x40008
	s_mul_i32 s6, s8, s6
	s_mov_b32 s29, 0
	s_getreg_b32 s36, hwreg(HW_REG_IB_STS2, 6, 4)
	s_add_co_i32 s9, s7, s6
	s_cmp_eq_u32 s36, 0
	s_mov_b32 s7, s29
	s_cselect_b32 s28, s8, s9
	s_wait_kmcnt 0x0
	s_mov_b32 s6, s3
	s_delay_alu instid0(SALU_CYCLE_1) | instskip(NEXT) | instid1(SALU_CYCLE_1)
	s_mul_u64 s[30:31], s[4:5], s[6:7]
	v_cmp_le_i64_e64 s4, s[30:31], s[28:29]
	s_and_b32 vcc_lo, exec_lo, s4
	s_cbranch_vccnz .LBB1_6
; %bb.1:
	s_clause 0x2
	s_load_b64 s[34:35], s[0:1], 0x88
	s_load_b256 s[20:27], s[0:1], 0x0
	s_load_b512 s[4:19], s[0:1], 0x38
	s_bfe_u32 s37, ttmp6, 0x4000c
	s_bfe_u32 s39, ttmp6, 0x40010
	s_and_b32 s38, ttmp7, 0xffff
	s_add_co_i32 s37, s37, 1
	s_add_co_i32 s39, s39, 1
	s_and_b32 s33, ttmp6, 15
	s_bfe_u32 s40, ttmp6, 0x40004
	s_mul_i32 s37, ttmp9, s37
	s_mul_i32 s39, s38, s39
	s_add_co_i32 s41, s33, s37
	s_add_co_i32 s40, s40, s39
	v_mov_b32_e32 v1, 0
	s_mov_b32 s39, s29
	s_wait_kmcnt 0x0
	s_and_b32 s33, s35, 0xffff
	s_cmp_eq_u32 s36, 0
	s_cselect_b32 s35, s38, s40
	s_clause 0x1
	s_load_b64 s[36:37], s[0:1], 0x78
	s_load_b32 s38, s[0:1], 0x28
	v_mad_u32 v0, s35, s33, v0
	s_cselect_b32 s42, ttmp9, s41
	s_add_nc_u64 s[40:41], s[0:1], 0x80
	s_ashr_i32 s43, s42, 31
	s_mov_b32 s35, s29
	s_wait_xcnt 0x0
	s_mul_u64 s[0:1], s[4:5], s[42:43]
	s_mul_u64 s[4:5], s[16:17], s[42:43]
	s_lshl_b64 s[0:1], s[0:1], 2
	s_lshl_b64 s[16:17], s[4:5], 2
	s_add_nc_u64 s[4:5], s[24:25], s[0:1]
	s_add_nc_u64 s[16:17], s[22:23], s[16:17]
	v_lshlrev_b64_e32 v[4:5], 2, v[0:1]
	v_cmp_gt_i64_e64 s0, s[26:27], v[0:1]
	s_lshl_b64 s[6:7], s[6:7], 2
	s_lshl_b64 s[8:9], s[8:9], 2
	v_add_nc_u64_e32 v[2:3], s[4:5], v[4:5]
	v_add_nc_u64_e32 v[4:5], s[20:21], v[4:5]
	s_mov_b64 s[4:5], 0xffffffff
	s_mov_b64 s[20:21], s[28:29]
	s_branch .LBB1_3
.LBB1_2:                                ;   in Loop: Header=BB1_3 Depth=1
	s_or_b32 exec_lo, exec_lo, s1
	s_add_nc_u64 s[20:21], s[20:21], s[34:35]
	s_delay_alu instid0(SALU_CYCLE_1)
	v_cmp_lt_i64_e64 s1, s[20:21], s[30:31]
	s_and_b32 vcc_lo, exec_lo, s1
	s_cbranch_vccz .LBB1_6
.LBB1_3:                                ; =>This Loop Header: Depth=1
                                        ;     Child Loop BB1_5 Depth 2
	s_and_saveexec_b32 s1, s0
	s_cbranch_execz .LBB1_2
; %bb.4:                                ;   in Loop: Header=BB1_3 Depth=1
	s_and_b64 s[22:23], s[20:21], s[4:5]
	v_mov_b64_e32 v[10:11], v[0:1]
	s_wait_kmcnt 0x0
	s_mul_u64 s[22:23], s[22:23], s[38:39]
	s_delay_alu instid0(SALU_CYCLE_1) | instskip(NEXT) | instid1(SALU_CYCLE_1)
	s_add_co_i32 s22, s23, s20
	s_lshr_b32 s22, s22, s2
	s_delay_alu instid0(SALU_CYCLE_1)
	s_mul_i32 s24, s22, s3
	s_ashr_i32 s23, s22, 31
	s_sub_co_i32 s24, s20, s24
	s_mul_u64 s[42:43], s[18:19], s[22:23]
	s_ashr_i32 s25, s24, 31
	s_lshl_b64 s[42:43], s[42:43], 2
	s_mul_u64 s[44:45], s[36:37], s[24:25]
	s_add_nc_u64 s[42:43], s[16:17], s[42:43]
	s_lshl_b64 s[44:45], s[44:45], 2
	s_mul_u64 s[46:47], s[8:9], s[24:25]
	s_add_nc_u64 s[42:43], s[42:43], s[44:45]
	s_mul_u64 s[24:25], s[14:15], s[24:25]
	s_load_b32 s44, s[42:43], 0x0
	s_load_b32 s28, s[40:41], 0x4
	s_wait_xcnt 0x0
	s_mul_u64 s[42:43], s[12:13], s[22:23]
	s_mul_u64 s[22:23], s[6:7], s[22:23]
	s_delay_alu instid0(SALU_CYCLE_1) | instskip(NEXT) | instid1(SALU_CYCLE_1)
	s_add_nc_u64 s[22:23], s[22:23], s[46:47]
	v_add_nc_u64_e32 v[6:7], s[22:23], v[2:3]
	s_wait_kmcnt 0x0
	s_ashr_i32 s45, s44, 31
	s_mul_i32 s28, s28, s33
	s_mul_u64 s[44:45], s[10:11], s[44:45]
	s_lshl_b64 s[22:23], s[28:29], 2
	s_add_nc_u64 s[42:43], s[42:43], s[44:45]
	s_delay_alu instid0(SALU_CYCLE_1)
	s_add_nc_u64 s[24:25], s[42:43], s[24:25]
	s_mov_b32 s42, 0
	v_add_nc_u64_e32 v[8:9], s[24:25], v[4:5]
	s_mov_b64 s[24:25], 0
.LBB1_5:                                ;   Parent Loop BB1_3 Depth=1
                                        ; =>  This Inner Loop Header: Depth=2
	s_delay_alu instid0(VALU_DEP_1) | instid1(SALU_CYCLE_1)
	v_add_nc_u64_e32 v[12:13], s[24:25], v[8:9]
	v_add_nc_u64_e32 v[10:11], s[28:29], v[10:11]
	global_load_b32 v14, v[12:13], off
	v_cmp_le_i64_e32 vcc_lo, s[26:27], v[10:11]
	s_wait_xcnt 0x0
	v_add_nc_u64_e32 v[12:13], s[24:25], v[6:7]
	s_add_nc_u64 s[24:25], s[24:25], s[22:23]
	s_or_b32 s42, vcc_lo, s42
	s_wait_loadcnt 0x0
	global_store_b32 v[12:13], v14, off
	s_wait_xcnt 0x0
	s_and_not1_b32 exec_lo, exec_lo, s42
	s_cbranch_execnz .LBB1_5
	s_branch .LBB1_2
.LBB1_6:
	s_endpgm
	.section	.rodata,"a",@progbits
	.p2align	6, 0x0
	.amdhsa_kernel _ZL16k_get_rows_floatIffEvPKT_PKiPT0_ll15HIP_vector_typeIjLj3EEmmmmmmmmm
		.amdhsa_group_segment_fixed_size 0
		.amdhsa_private_segment_fixed_size 0
		.amdhsa_kernarg_size 384
		.amdhsa_user_sgpr_count 2
		.amdhsa_user_sgpr_dispatch_ptr 0
		.amdhsa_user_sgpr_queue_ptr 0
		.amdhsa_user_sgpr_kernarg_segment_ptr 1
		.amdhsa_user_sgpr_dispatch_id 0
		.amdhsa_user_sgpr_kernarg_preload_length 0
		.amdhsa_user_sgpr_kernarg_preload_offset 0
		.amdhsa_user_sgpr_private_segment_size 0
		.amdhsa_wavefront_size32 1
		.amdhsa_uses_dynamic_stack 0
		.amdhsa_enable_private_segment 0
		.amdhsa_system_sgpr_workgroup_id_x 1
		.amdhsa_system_sgpr_workgroup_id_y 1
		.amdhsa_system_sgpr_workgroup_id_z 1
		.amdhsa_system_sgpr_workgroup_info 0
		.amdhsa_system_vgpr_workitem_id 0
		.amdhsa_next_free_vgpr 15
		.amdhsa_next_free_sgpr 48
		.amdhsa_named_barrier_count 0
		.amdhsa_reserve_vcc 1
		.amdhsa_float_round_mode_32 0
		.amdhsa_float_round_mode_16_64 0
		.amdhsa_float_denorm_mode_32 3
		.amdhsa_float_denorm_mode_16_64 3
		.amdhsa_fp16_overflow 0
		.amdhsa_memory_ordered 1
		.amdhsa_forward_progress 1
		.amdhsa_inst_pref_size 5
		.amdhsa_round_robin_scheduling 0
		.amdhsa_exception_fp_ieee_invalid_op 0
		.amdhsa_exception_fp_denorm_src 0
		.amdhsa_exception_fp_ieee_div_zero 0
		.amdhsa_exception_fp_ieee_overflow 0
		.amdhsa_exception_fp_ieee_underflow 0
		.amdhsa_exception_fp_ieee_inexact 0
		.amdhsa_exception_int_div_zero 0
	.end_amdhsa_kernel
	.section	.text._ZL16k_get_rows_floatIffEvPKT_PKiPT0_ll15HIP_vector_typeIjLj3EEmmmmmmmmm,"axG",@progbits,_ZL16k_get_rows_floatIffEvPKT_PKiPT0_ll15HIP_vector_typeIjLj3EEmmmmmmmmm,comdat
.Lfunc_end1:
	.size	_ZL16k_get_rows_floatIffEvPKT_PKiPT0_ll15HIP_vector_typeIjLj3EEmmmmmmmmm, .Lfunc_end1-_ZL16k_get_rows_floatIffEvPKT_PKiPT0_ll15HIP_vector_typeIjLj3EEmmmmmmmmm
                                        ; -- End function
	.set _ZL16k_get_rows_floatIffEvPKT_PKiPT0_ll15HIP_vector_typeIjLj3EEmmmmmmmmm.num_vgpr, 15
	.set _ZL16k_get_rows_floatIffEvPKT_PKiPT0_ll15HIP_vector_typeIjLj3EEmmmmmmmmm.num_agpr, 0
	.set _ZL16k_get_rows_floatIffEvPKT_PKiPT0_ll15HIP_vector_typeIjLj3EEmmmmmmmmm.numbered_sgpr, 48
	.set _ZL16k_get_rows_floatIffEvPKT_PKiPT0_ll15HIP_vector_typeIjLj3EEmmmmmmmmm.num_named_barrier, 0
	.set _ZL16k_get_rows_floatIffEvPKT_PKiPT0_ll15HIP_vector_typeIjLj3EEmmmmmmmmm.private_seg_size, 0
	.set _ZL16k_get_rows_floatIffEvPKT_PKiPT0_ll15HIP_vector_typeIjLj3EEmmmmmmmmm.uses_vcc, 1
	.set _ZL16k_get_rows_floatIffEvPKT_PKiPT0_ll15HIP_vector_typeIjLj3EEmmmmmmmmm.uses_flat_scratch, 0
	.set _ZL16k_get_rows_floatIffEvPKT_PKiPT0_ll15HIP_vector_typeIjLj3EEmmmmmmmmm.has_dyn_sized_stack, 0
	.set _ZL16k_get_rows_floatIffEvPKT_PKiPT0_ll15HIP_vector_typeIjLj3EEmmmmmmmmm.has_recursion, 0
	.set _ZL16k_get_rows_floatIffEvPKT_PKiPT0_ll15HIP_vector_typeIjLj3EEmmmmmmmmm.has_indirect_call, 0
	.section	.AMDGPU.csdata,"",@progbits
; Kernel info:
; codeLenInByte = 620
; TotalNumSgprs: 50
; NumVgprs: 15
; ScratchSize: 0
; MemoryBound: 0
; FloatMode: 240
; IeeeMode: 1
; LDSByteSize: 0 bytes/workgroup (compile time only)
; SGPRBlocks: 0
; VGPRBlocks: 0
; NumSGPRsForWavesPerEU: 50
; NumVGPRsForWavesPerEU: 15
; NamedBarCnt: 0
; Occupancy: 16
; WaveLimiterHint : 1
; COMPUTE_PGM_RSRC2:SCRATCH_EN: 0
; COMPUTE_PGM_RSRC2:USER_SGPR: 2
; COMPUTE_PGM_RSRC2:TRAP_HANDLER: 0
; COMPUTE_PGM_RSRC2:TGID_X_EN: 1
; COMPUTE_PGM_RSRC2:TGID_Y_EN: 1
; COMPUTE_PGM_RSRC2:TGID_Z_EN: 1
; COMPUTE_PGM_RSRC2:TIDIG_COMP_CNT: 0
	.section	.text._ZL16k_get_rows_floatIifEvPKT_PKiPT0_ll15HIP_vector_typeIjLj3EEmmmmmmmmm,"axG",@progbits,_ZL16k_get_rows_floatIifEvPKT_PKiPT0_ll15HIP_vector_typeIjLj3EEmmmmmmmmm,comdat
	.globl	_ZL16k_get_rows_floatIifEvPKT_PKiPT0_ll15HIP_vector_typeIjLj3EEmmmmmmmmm ; -- Begin function _ZL16k_get_rows_floatIifEvPKT_PKiPT0_ll15HIP_vector_typeIjLj3EEmmmmmmmmm
	.p2align	8
	.type	_ZL16k_get_rows_floatIifEvPKT_PKiPT0_ll15HIP_vector_typeIjLj3EEmmmmmmmmm,@function
_ZL16k_get_rows_floatIifEvPKT_PKiPT0_ll15HIP_vector_typeIjLj3EEmmmmmmmmm: ; @_ZL16k_get_rows_floatIifEvPKT_PKiPT0_ll15HIP_vector_typeIjLj3EEmmmmmmmmm
; %bb.0:
	s_clause 0x1
	s_load_b64 s[28:29], s[0:1], 0x2c
	s_load_b64 s[4:5], s[0:1], 0x20
	s_bfe_u32 s2, ttmp6, 0x40014
	s_lshr_b32 s3, ttmp7, 16
	s_add_co_i32 s2, s2, 1
	s_bfe_u32 s6, ttmp6, 0x40008
	s_mul_i32 s7, s3, s2
	s_mov_b32 s31, 0
	s_getreg_b32 s2, hwreg(HW_REG_IB_STS2, 6, 4)
	s_add_co_i32 s8, s6, s7
	s_cmp_eq_u32 s2, 0
	s_mov_b32 s7, s31
	s_cselect_b32 s30, s3, s8
	s_wait_kmcnt 0x0
	s_mov_b32 s6, s29
	s_delay_alu instid0(SALU_CYCLE_1) | instskip(NEXT) | instid1(SALU_CYCLE_1)
	s_mul_u64 s[34:35], s[4:5], s[6:7]
	v_cmp_le_i64_e64 s3, s[34:35], s[30:31]
	s_and_b32 vcc_lo, exec_lo, s3
	s_cbranch_vccnz .LBB2_19
; %bb.1:
	s_clause 0x4
	s_load_b64 s[36:37], s[0:1], 0x88
	s_load_b64 s[38:39], s[0:1], 0x78
	s_load_b256 s[20:27], s[0:1], 0x0
	s_load_b32 s40, s[0:1], 0x28
	s_load_b512 s[4:19], s[0:1], 0x38
	s_bfe_u32 s33, ttmp6, 0x4000c
	s_bfe_u32 s42, ttmp6, 0x40010
	s_and_b32 s41, ttmp7, 0xffff
	s_add_co_i32 s33, s33, 1
	s_add_co_i32 s42, s42, 1
	s_and_b32 s3, ttmp6, 15
	s_bfe_u32 s43, ttmp6, 0x40004
	s_mul_i32 s33, ttmp9, s33
	s_mul_i32 s42, s41, s42
	s_add_co_i32 s3, s3, s33
	s_add_co_i32 s43, s43, s42
	v_mov_b32_e32 v1, 0
	s_mov_b32 s72, 0x4f800000
	s_mov_b64 s[46:47], s[30:31]
	s_wait_kmcnt 0x0
	s_and_b32 s33, s37, 0xffff
	s_cmp_eq_u32 s2, 0
	v_mov_b32_e32 v3, v1
	s_cselect_b32 s2, s41, s43
	s_add_nc_u64 s[42:43], s[0:1], 0x80
	v_mad_u32 v2, s2, s33, v0
	s_cselect_b32 s0, ttmp9, s3
	s_mov_b32 s41, s31
	s_ashr_i32 s1, s0, 31
	s_mov_b32 s37, s31
	s_mul_u64 s[2:3], s[16:17], s[0:1]
	s_mul_u64 s[0:1], s[4:5], s[0:1]
	s_lshl_b64 s[2:3], s[2:3], 2
	s_lshl_b64 s[4:5], s[0:1], 2
	s_add_nc_u64 s[16:17], s[22:23], s[2:3]
	s_mov_b64 s[22:23], 0xffffffff
	v_cmp_gt_i64_e64 s0, s[26:27], v[2:3]
	v_lshlrev_b64_e32 v[4:5], 2, v[2:3]
	s_lshl_b64 s[6:7], s[6:7], 2
	s_lshl_b64 s[8:9], s[8:9], 2
	s_add_nc_u64 s[44:45], s[24:25], s[4:5]
	s_branch .LBB2_3
.LBB2_2:                                ;   in Loop: Header=BB2_3 Depth=1
	s_or_b32 exec_lo, exec_lo, s73
	s_add_nc_u64 s[46:47], s[46:47], s[36:37]
	s_delay_alu instid0(SALU_CYCLE_1)
	v_cmp_lt_i64_e64 s1, s[46:47], s[34:35]
	s_and_b32 vcc_lo, exec_lo, s1
	s_cbranch_vccz .LBB2_19
.LBB2_3:                                ; =>This Loop Header: Depth=1
                                        ;     Child Loop BB2_12 Depth 2
                                        ;     Child Loop BB2_18 Depth 2
	s_and_saveexec_b32 s73, s0
	s_cbranch_execz .LBB2_2
; %bb.4:                                ;   in Loop: Header=BB2_3 Depth=1
	s_load_b32 s1, s[42:43], 0x4
	v_mov_b32_e32 v11, s31
	s_wait_kmcnt 0x0
	s_mul_i32 s30, s1, s33
	s_delay_alu instid0(SALU_CYCLE_1) | instskip(NEXT) | instid1(VALU_DEP_1)
	v_add_nc_u64_e32 v[6:7], s[30:31], v[2:3]
	v_max_i64 v[8:9], s[26:27], v[6:7]
	v_cmp_gt_i64_e64 s1, s[26:27], v[6:7]
	s_delay_alu instid0(VALU_DEP_1) | instskip(NEXT) | instid1(VALU_DEP_1)
	v_cndmask_b32_e64 v10, 0, 1, s1
	v_sub_nc_u64_e32 v[8:9], v[8:9], v[10:11]
	s_delay_alu instid0(VALU_DEP_1) | instskip(NEXT) | instid1(VALU_DEP_1)
	v_sub_nc_u64_e32 v[6:7], v[8:9], v[6:7]
	v_dual_mov_b32 v8, v1 :: v_dual_mov_b32 v9, v7
	s_delay_alu instid0(VALU_DEP_1) | instskip(SKIP_1) | instid1(SALU_CYCLE_1)
	v_cmp_ne_u64_e32 vcc_lo, 0, v[8:9]
                                        ; implicit-def: $vgpr8_vgpr9
	s_and_saveexec_b32 s2, vcc_lo
	s_xor_b32 s3, exec_lo, s2
	s_cbranch_execz .LBB2_6
; %bb.5:                                ;   in Loop: Header=BB2_3 Depth=1
	s_cvt_f32_u32 s2, s30
	s_sub_nc_u64 s[50:51], 0, s[30:31]
	s_mov_b32 s53, s31
	s_mov_b32 s57, s31
	s_fmamk_f32 s2, s72, 0x0, s2
	v_mov_b32_e32 v0, v6
	s_delay_alu instid0(SALU_CYCLE_2) | instskip(NEXT) | instid1(TRANS32_DEP_1)
	v_s_rcp_f32 s2, s2
	s_mul_f32 s2, s2, 0x5f7ffffc
	s_delay_alu instid0(SALU_CYCLE_3) | instskip(NEXT) | instid1(SALU_CYCLE_3)
	s_mul_f32 s48, s2, 0x2f800000
	s_trunc_f32 s48, s48
	s_delay_alu instid0(SALU_CYCLE_3) | instskip(SKIP_1) | instid1(SALU_CYCLE_2)
	s_fmamk_f32 s2, s48, 0xcf800000, s2
	s_cvt_u32_f32 s49, s48
	s_cvt_u32_f32 s48, s2
	s_delay_alu instid0(SALU_CYCLE_3) | instskip(NEXT) | instid1(SALU_CYCLE_1)
	s_mul_u64 s[54:55], s[50:51], s[48:49]
	s_mul_hi_u32 s59, s48, s55
	s_mul_i32 s58, s48, s55
	s_mul_hi_u32 s52, s48, s54
	s_mul_i32 s56, s49, s54
	s_add_nc_u64 s[52:53], s[52:53], s[58:59]
	s_mul_hi_u32 s2, s49, s54
	s_mul_hi_u32 s60, s49, s55
	s_add_co_u32 s52, s52, s56
	s_add_co_ci_u32 s56, s53, s2
	s_mul_i32 s54, s49, s55
	s_add_co_ci_u32 s55, s60, 0
	s_delay_alu instid0(SALU_CYCLE_1) | instskip(SKIP_3) | instid1(SALU_CYCLE_1)
	s_add_nc_u64 s[52:53], s[56:57], s[54:55]
	s_mov_b32 s55, s31
	s_add_co_u32 s48, s48, s52
	s_cselect_b32 s2, -1, 0
	s_cmp_lg_u32 s2, 0
	s_add_co_ci_u32 s49, s49, s53
	s_mov_b32 s53, s31
	s_mul_u64 s[50:51], s[50:51], s[48:49]
	s_delay_alu instid0(SALU_CYCLE_1)
	s_mul_hi_u32 s57, s48, s51
	s_mul_i32 s56, s48, s51
	s_mul_hi_u32 s52, s48, s50
	s_mul_i32 s54, s49, s50
	s_add_nc_u64 s[52:53], s[52:53], s[56:57]
	s_mul_hi_u32 s2, s49, s50
	s_mul_hi_u32 s58, s49, s51
	s_mul_i32 s50, s49, s51
	s_add_co_u32 s51, s52, s54
	s_add_co_ci_u32 s54, s53, s2
	s_add_co_ci_u32 s51, s58, 0
	s_mov_b32 s53, s31
	s_add_nc_u64 s[50:51], s[54:55], s[50:51]
	s_delay_alu instid0(SALU_CYCLE_1) | instskip(SKIP_1) | instid1(SALU_CYCLE_1)
	s_add_co_u32 s2, s48, s50
	s_cselect_b32 s48, -1, 0
	s_cmp_lg_u32 s48, 0
	s_add_co_ci_u32 s52, s49, s51
	s_and_b64 s[48:49], s[2:3], s[22:23]
	v_mul_u64_e32 v[8:9], s[52:53], v[0:1]
	v_mul_hi_u32 v0, v6, s2
	s_delay_alu instid0(VALU_DEP_1) | instskip(SKIP_1) | instid1(VALU_DEP_1)
	v_add_nc_u64_e32 v[8:9], v[0:1], v[8:9]
	v_mov_b32_e32 v0, v7
	v_mul_u64_e32 v[10:11], s[48:49], v[0:1]
	v_mul_u64_e32 v[12:13], s[52:53], v[0:1]
	s_delay_alu instid0(VALU_DEP_2) | instskip(NEXT) | instid1(VALU_DEP_3)
	v_add_co_u32 v0, vcc_lo, v8, v10
	v_add_co_ci_u32_e32 v0, vcc_lo, v9, v11, vcc_lo
	s_delay_alu instid0(VALU_DEP_3) | instskip(NEXT) | instid1(VALU_DEP_1)
	v_add_co_ci_u32_e32 v13, vcc_lo, 0, v13, vcc_lo
	v_add_nc_u64_e32 v[8:9], v[0:1], v[12:13]
	s_delay_alu instid0(VALU_DEP_1) | instskip(NEXT) | instid1(VALU_DEP_1)
	v_mul_u64_e32 v[10:11], s[30:31], v[8:9]
	v_sub_co_u32 v0, vcc_lo, v6, v10
	s_delay_alu instid0(VALU_DEP_1) | instskip(NEXT) | instid1(VALU_DEP_2)
	v_sub_co_ci_u32_e64 v12, null, v7, v11, vcc_lo
	v_sub_co_u32 v6, vcc_lo, v0, s30
	s_delay_alu instid0(VALU_DEP_1) | instskip(SKIP_1) | instid1(VALU_DEP_3)
	v_subrev_co_ci_u32_e64 v10, null, 0, v12, vcc_lo
	v_cmp_eq_u32_e64 s2, 0, v12
	v_cmp_le_u32_e32 vcc_lo, s30, v6
	v_add_nc_u64_e32 v[6:7], 2, v[8:9]
	v_cndmask_b32_e64 v11, 0, -1, vcc_lo
	v_cmp_eq_u32_e32 vcc_lo, 0, v10
	s_delay_alu instid0(VALU_DEP_2) | instskip(SKIP_3) | instid1(VALU_DEP_4)
	v_cndmask_b32_e32 v13, -1, v11, vcc_lo
	v_cmp_le_u32_e32 vcc_lo, s30, v0
	v_add_nc_u64_e32 v[10:11], 1, v[8:9]
	v_cndmask_b32_e64 v0, 0, -1, vcc_lo
	v_cmp_ne_u32_e32 vcc_lo, 0, v13
	s_delay_alu instid0(VALU_DEP_2) | instskip(NEXT) | instid1(VALU_DEP_4)
	v_dual_cndmask_b32 v0, -1, v0, s2 :: v_dual_cndmask_b32 v7, v11, v7, vcc_lo
	v_cndmask_b32_e32 v6, v10, v6, vcc_lo
	s_delay_alu instid0(VALU_DEP_2) | instskip(NEXT) | instid1(VALU_DEP_2)
	v_cmp_ne_u32_e32 vcc_lo, 0, v0
	v_dual_cndmask_b32 v9, v9, v7 :: v_dual_cndmask_b32 v8, v8, v6
                                        ; implicit-def: $vgpr6_vgpr7
.LBB2_6:                                ;   in Loop: Header=BB2_3 Depth=1
	s_or_saveexec_b32 s51, s3
	s_and_b64 s[2:3], s[46:47], s[22:23]
	s_delay_alu instid0(SALU_CYCLE_1) | instskip(NEXT) | instid1(SALU_CYCLE_1)
	s_mul_u64 s[2:3], s[2:3], s[40:41]
	s_add_co_i32 s2, s3, s46
	s_delay_alu instid0(SALU_CYCLE_1) | instskip(NEXT) | instid1(SALU_CYCLE_1)
	s_lshr_b32 s2, s2, s28
	s_mul_i32 s48, s2, s29
	s_ashr_i32 s3, s2, 31
	s_sub_co_i32 s48, s46, s48
	s_mul_u64 s[52:53], s[18:19], s[2:3]
	s_ashr_i32 s49, s48, 31
	s_lshl_b64 s[52:53], s[52:53], 2
	s_mul_u64 s[54:55], s[38:39], s[48:49]
	s_add_nc_u64 s[52:53], s[16:17], s[52:53]
	s_lshl_b64 s[54:55], s[54:55], 2
	s_delay_alu instid0(SALU_CYCLE_1)
	s_add_nc_u64 s[52:53], s[52:53], s[54:55]
	s_load_b32 s50, s[52:53], 0x0
	s_xor_b32 exec_lo, exec_lo, s51
	s_cbranch_execz .LBB2_8
; %bb.7:                                ;   in Loop: Header=BB2_3 Depth=1
	v_cvt_f32_u32_e32 v0, s30
	s_wait_xcnt 0x0
	s_sub_co_i32 s52, 0, s30
	s_delay_alu instid0(VALU_DEP_1) | instskip(SKIP_1) | instid1(TRANS32_DEP_1)
	v_rcp_iflag_f32_e32 v0, v0
	v_nop
	v_mul_f32_e32 v0, 0x4f7ffffe, v0
	s_delay_alu instid0(VALU_DEP_1) | instskip(NEXT) | instid1(VALU_DEP_1)
	v_cvt_u32_f32_e32 v0, v0
	v_mul_lo_u32 v7, s52, v0
	s_delay_alu instid0(VALU_DEP_1) | instskip(NEXT) | instid1(VALU_DEP_1)
	v_mul_hi_u32 v7, v0, v7
	v_add_nc_u32_e32 v0, v0, v7
	s_delay_alu instid0(VALU_DEP_1) | instskip(NEXT) | instid1(VALU_DEP_1)
	v_mul_hi_u32 v0, v6, v0
	v_mul_lo_u32 v7, v0, s30
	s_delay_alu instid0(VALU_DEP_1) | instskip(NEXT) | instid1(VALU_DEP_1)
	v_dual_sub_nc_u32 v6, v6, v7 :: v_dual_add_nc_u32 v7, 1, v0
	v_subrev_nc_u32_e32 v8, s30, v6
	v_cmp_le_u32_e32 vcc_lo, s30, v6
	s_delay_alu instid0(VALU_DEP_2) | instskip(NEXT) | instid1(VALU_DEP_1)
	v_dual_cndmask_b32 v6, v6, v8, vcc_lo :: v_dual_cndmask_b32 v0, v0, v7, vcc_lo
	v_cmp_le_u32_e32 vcc_lo, s30, v6
	s_delay_alu instid0(VALU_DEP_2) | instskip(NEXT) | instid1(VALU_DEP_1)
	v_add_nc_u32_e32 v7, 1, v0
	v_cndmask_b32_e32 v0, v0, v7, vcc_lo
	s_delay_alu instid0(VALU_DEP_1)
	v_mov_b64_e32 v[8:9], v[0:1]
.LBB2_8:                                ;   in Loop: Header=BB2_3 Depth=1
	s_or_b32 exec_lo, exec_lo, s51
	v_cndmask_b32_e64 v0, 1, 2, s1
	s_wait_kmcnt 0x0
	s_ashr_i32 s51, s50, 31
	s_mul_u64 s[54:55], s[12:13], s[2:3]
	s_mul_u64 s[50:51], s[10:11], s[50:51]
	;; [unrolled: 1-line block ×3, first 2 shown]
	v_add_nc_u64_e32 v[6:7], v[0:1], v[8:9]
	s_add_nc_u64 s[50:51], s[54:55], s[50:51]
	s_mul_u64 s[54:55], s[14:15], s[48:49]
	s_mul_u64 s[48:49], s[8:9], s[48:49]
	s_wait_xcnt 0x0
	s_mov_b32 s52, 0
	s_add_nc_u64 s[2:3], s[50:51], s[54:55]
	s_add_nc_u64 s[48:49], s[56:57], s[48:49]
	s_mov_b32 s1, exec_lo
                                        ; implicit-def: $vgpr8_vgpr9
                                        ; implicit-def: $vgpr14_vgpr15
                                        ; implicit-def: $vgpr12_vgpr13
                                        ; implicit-def: $vgpr10_vgpr11
                                        ; implicit-def: $vgpr16_vgpr17
	v_cmpx_lt_u64_e32 3, v[6:7]
	s_xor_b32 s1, exec_lo, s1
	s_cbranch_execnz .LBB2_11
; %bb.9:                                ;   in Loop: Header=BB2_3 Depth=1
	s_and_not1_saveexec_b32 s1, s1
	s_cbranch_execnz .LBB2_16
.LBB2_10:                               ;   in Loop: Header=BB2_3 Depth=1
	s_or_b32 exec_lo, exec_lo, s1
	s_delay_alu instid0(SALU_CYCLE_1)
	s_and_b32 exec_lo, exec_lo, s52
	s_cbranch_execz .LBB2_2
	s_branch .LBB2_17
.LBB2_11:                               ;   in Loop: Header=BB2_3 Depth=1
	v_dual_mov_b32 v11, v7 :: v_dual_bitop2_b32 v10, -4, v6 bitop3:0x40
	s_mul_u64 s[62:63], s[30:31], 12
	s_lshl_b64 s[64:65], s[30:31], 3
	s_add_nc_u64 s[50:51], s[2:3], s[62:63]
	s_add_nc_u64 s[66:67], s[48:49], s[4:5]
	v_mov_b64_e32 v[8:9], v[10:11]
	s_add_nc_u64 s[52:53], s[20:21], s[50:51]
	s_lshl_b64 s[50:51], s[30:31], 2
	s_add_nc_u64 s[56:57], s[2:3], s[64:65]
	s_add_nc_u64 s[58:59], s[2:3], s[50:51]
	;; [unrolled: 1-line block ×5, first 2 shown]
	s_lshl_b64 s[54:55], s[30:31], 4
	s_add_nc_u64 s[56:57], s[20:21], s[56:57]
	s_add_nc_u64 s[58:59], s[20:21], s[58:59]
	;; [unrolled: 1-line block ×6, first 2 shown]
	s_mov_b32 s74, 0
	s_mov_b64 s[70:71], s[24:25]
.LBB2_12:                               ;   Parent Loop BB2_3 Depth=1
                                        ; =>  This Inner Loop Header: Depth=2
	v_add_nc_u64_e32 v[12:13], s[60:61], v[4:5]
	v_add_nc_u64_e32 v[14:15], s[58:59], v[4:5]
	;; [unrolled: 1-line block ×4, first 2 shown]
	v_add_nc_u64_e32 v[8:9], -4, v[8:9]
	s_add_nc_u64 s[52:53], s[52:53], s[54:55]
	s_add_nc_u64 s[56:57], s[56:57], s[54:55]
	global_load_b32 v0, v[12:13], off
	global_load_b32 v20, v[14:15], off
	;; [unrolled: 1-line block ×4, first 2 shown]
	s_wait_xcnt 0x0
	v_add_nc_u64_e32 v[18:19], s[70:71], v[4:5]
	v_add_nc_u64_e32 v[12:13], s[68:69], v[4:5]
	;; [unrolled: 1-line block ×3, first 2 shown]
	v_cmp_eq_u64_e32 vcc_lo, 0, v[8:9]
	v_add_nc_u64_e32 v[16:17], s[64:65], v[4:5]
	s_add_nc_u64 s[58:59], s[58:59], s[54:55]
	s_add_nc_u64 s[60:61], s[60:61], s[54:55]
	v_add_nc_u64_e32 v[18:19], s[62:63], v[18:19]
	s_add_nc_u64 s[70:71], s[70:71], s[54:55]
	s_add_nc_u64 s[64:65], s[64:65], s[54:55]
	;; [unrolled: 1-line block ×4, first 2 shown]
	s_or_b32 s74, vcc_lo, s74
	s_wait_loadcnt 0x3
	v_cvt_f32_i32_e32 v0, v0
	s_wait_loadcnt 0x2
	v_cvt_f32_i32_e32 v20, v20
	;; [unrolled: 2-line block ×4, first 2 shown]
	global_store_b32 v[12:13], v0, off
	global_store_b32 v[14:15], v20, off
	;; [unrolled: 1-line block ×4, first 2 shown]
	s_wait_xcnt 0x0
	s_and_not1_b32 exec_lo, exec_lo, s74
	s_cbranch_execnz .LBB2_12
; %bb.13:                               ;   in Loop: Header=BB2_3 Depth=1
	s_or_b32 exec_lo, exec_lo, s74
	s_mov_b32 s52, 0
	s_mov_b32 s53, exec_lo
                                        ; implicit-def: $vgpr8_vgpr9
                                        ; implicit-def: $vgpr12_vgpr13
	v_cmpx_ne_u64_e64 v[6:7], v[10:11]
	s_xor_b32 s53, exec_lo, s53
; %bb.14:                               ;   in Loop: Header=BB2_3 Depth=1
	v_mad_nc_u64_u32 v[8:9], v10, s30, v[2:3]
	s_mov_b32 s52, exec_lo
	s_delay_alu instid0(VALU_DEP_1) | instskip(NEXT) | instid1(VALU_DEP_1)
	v_mad_u32 v9, v11, s30, v9
	v_lshlrev_b64_e32 v[12:13], 2, v[8:9]
; %bb.15:                               ;   in Loop: Header=BB2_3 Depth=1
	s_or_b32 exec_lo, exec_lo, s53
	v_mov_b64_e32 v[16:17], s[2:3]
	v_mov_b64_e32 v[10:11], s[50:51]
	;; [unrolled: 1-line block ×3, first 2 shown]
	s_and_b32 s52, s52, exec_lo
	s_and_not1_saveexec_b32 s1, s1
	s_cbranch_execz .LBB2_10
.LBB2_16:                               ;   in Loop: Header=BB2_3 Depth=1
	s_lshl_b64 s[50:51], s[30:31], 2
	v_mov_b64_e32 v[14:15], s[48:49]
	v_mov_b64_e32 v[10:11], s[50:51]
	;; [unrolled: 1-line block ×5, first 2 shown]
	s_or_b32 s52, s52, exec_lo
	s_or_b32 exec_lo, exec_lo, s1
	s_delay_alu instid0(SALU_CYCLE_1)
	s_and_b32 exec_lo, exec_lo, s52
	s_cbranch_execz .LBB2_2
.LBB2_17:                               ;   in Loop: Header=BB2_3 Depth=1
	s_delay_alu instid0(VALU_DEP_1) | instskip(SKIP_3) | instid1(VALU_DEP_3)
	v_add_nc_u64_e32 v[6:7], v[14:15], v[12:13]
	v_add_nc_u64_e32 v[12:13], v[16:17], v[12:13]
	v_mov_b64_e32 v[14:15], 0
	s_mov_b32 s1, 0
	v_add_nc_u64_e32 v[6:7], s[44:45], v[6:7]
	s_delay_alu instid0(VALU_DEP_3)
	v_add_nc_u64_e32 v[12:13], s[20:21], v[12:13]
.LBB2_18:                               ;   Parent Loop BB2_3 Depth=1
                                        ; =>  This Inner Loop Header: Depth=2
	s_delay_alu instid0(VALU_DEP_1)
	v_add_nc_u64_e32 v[16:17], v[12:13], v[14:15]
	v_add_nc_u64_e32 v[8:9], s[30:31], v[8:9]
	global_load_b32 v0, v[16:17], off
	v_cmp_le_i64_e32 vcc_lo, s[26:27], v[8:9]
	s_wait_xcnt 0x0
	v_add_nc_u64_e32 v[16:17], v[6:7], v[14:15]
	v_add_nc_u64_e32 v[14:15], v[14:15], v[10:11]
	s_or_b32 s1, vcc_lo, s1
	s_wait_loadcnt 0x0
	v_cvt_f32_i32_e32 v0, v0
	global_store_b32 v[16:17], v0, off
	s_wait_xcnt 0x0
	s_and_not1_b32 exec_lo, exec_lo, s1
	s_cbranch_execnz .LBB2_18
	s_branch .LBB2_2
.LBB2_19:
	s_endpgm
	.section	.rodata,"a",@progbits
	.p2align	6, 0x0
	.amdhsa_kernel _ZL16k_get_rows_floatIifEvPKT_PKiPT0_ll15HIP_vector_typeIjLj3EEmmmmmmmmm
		.amdhsa_group_segment_fixed_size 0
		.amdhsa_private_segment_fixed_size 0
		.amdhsa_kernarg_size 384
		.amdhsa_user_sgpr_count 2
		.amdhsa_user_sgpr_dispatch_ptr 0
		.amdhsa_user_sgpr_queue_ptr 0
		.amdhsa_user_sgpr_kernarg_segment_ptr 1
		.amdhsa_user_sgpr_dispatch_id 0
		.amdhsa_user_sgpr_kernarg_preload_length 0
		.amdhsa_user_sgpr_kernarg_preload_offset 0
		.amdhsa_user_sgpr_private_segment_size 0
		.amdhsa_wavefront_size32 1
		.amdhsa_uses_dynamic_stack 0
		.amdhsa_enable_private_segment 0
		.amdhsa_system_sgpr_workgroup_id_x 1
		.amdhsa_system_sgpr_workgroup_id_y 1
		.amdhsa_system_sgpr_workgroup_id_z 1
		.amdhsa_system_sgpr_workgroup_info 0
		.amdhsa_system_vgpr_workitem_id 0
		.amdhsa_next_free_vgpr 23
		.amdhsa_next_free_sgpr 75
		.amdhsa_named_barrier_count 0
		.amdhsa_reserve_vcc 1
		.amdhsa_float_round_mode_32 0
		.amdhsa_float_round_mode_16_64 0
		.amdhsa_float_denorm_mode_32 3
		.amdhsa_float_denorm_mode_16_64 3
		.amdhsa_fp16_overflow 0
		.amdhsa_memory_ordered 1
		.amdhsa_forward_progress 1
		.amdhsa_inst_pref_size 15
		.amdhsa_round_robin_scheduling 0
		.amdhsa_exception_fp_ieee_invalid_op 0
		.amdhsa_exception_fp_denorm_src 0
		.amdhsa_exception_fp_ieee_div_zero 0
		.amdhsa_exception_fp_ieee_overflow 0
		.amdhsa_exception_fp_ieee_underflow 0
		.amdhsa_exception_fp_ieee_inexact 0
		.amdhsa_exception_int_div_zero 0
	.end_amdhsa_kernel
	.section	.text._ZL16k_get_rows_floatIifEvPKT_PKiPT0_ll15HIP_vector_typeIjLj3EEmmmmmmmmm,"axG",@progbits,_ZL16k_get_rows_floatIifEvPKT_PKiPT0_ll15HIP_vector_typeIjLj3EEmmmmmmmmm,comdat
.Lfunc_end2:
	.size	_ZL16k_get_rows_floatIifEvPKT_PKiPT0_ll15HIP_vector_typeIjLj3EEmmmmmmmmm, .Lfunc_end2-_ZL16k_get_rows_floatIifEvPKT_PKiPT0_ll15HIP_vector_typeIjLj3EEmmmmmmmmm
                                        ; -- End function
	.set _ZL16k_get_rows_floatIifEvPKT_PKiPT0_ll15HIP_vector_typeIjLj3EEmmmmmmmmm.num_vgpr, 23
	.set _ZL16k_get_rows_floatIifEvPKT_PKiPT0_ll15HIP_vector_typeIjLj3EEmmmmmmmmm.num_agpr, 0
	.set _ZL16k_get_rows_floatIifEvPKT_PKiPT0_ll15HIP_vector_typeIjLj3EEmmmmmmmmm.numbered_sgpr, 75
	.set _ZL16k_get_rows_floatIifEvPKT_PKiPT0_ll15HIP_vector_typeIjLj3EEmmmmmmmmm.num_named_barrier, 0
	.set _ZL16k_get_rows_floatIifEvPKT_PKiPT0_ll15HIP_vector_typeIjLj3EEmmmmmmmmm.private_seg_size, 0
	.set _ZL16k_get_rows_floatIifEvPKT_PKiPT0_ll15HIP_vector_typeIjLj3EEmmmmmmmmm.uses_vcc, 1
	.set _ZL16k_get_rows_floatIifEvPKT_PKiPT0_ll15HIP_vector_typeIjLj3EEmmmmmmmmm.uses_flat_scratch, 0
	.set _ZL16k_get_rows_floatIifEvPKT_PKiPT0_ll15HIP_vector_typeIjLj3EEmmmmmmmmm.has_dyn_sized_stack, 0
	.set _ZL16k_get_rows_floatIifEvPKT_PKiPT0_ll15HIP_vector_typeIjLj3EEmmmmmmmmm.has_recursion, 0
	.set _ZL16k_get_rows_floatIifEvPKT_PKiPT0_ll15HIP_vector_typeIjLj3EEmmmmmmmmm.has_indirect_call, 0
	.section	.AMDGPU.csdata,"",@progbits
; Kernel info:
; codeLenInByte = 1824
; TotalNumSgprs: 77
; NumVgprs: 23
; ScratchSize: 0
; MemoryBound: 0
; FloatMode: 240
; IeeeMode: 1
; LDSByteSize: 0 bytes/workgroup (compile time only)
; SGPRBlocks: 0
; VGPRBlocks: 1
; NumSGPRsForWavesPerEU: 77
; NumVGPRsForWavesPerEU: 23
; NamedBarCnt: 0
; Occupancy: 16
; WaveLimiterHint : 1
; COMPUTE_PGM_RSRC2:SCRATCH_EN: 0
; COMPUTE_PGM_RSRC2:USER_SGPR: 2
; COMPUTE_PGM_RSRC2:TRAP_HANDLER: 0
; COMPUTE_PGM_RSRC2:TGID_X_EN: 1
; COMPUTE_PGM_RSRC2:TGID_Y_EN: 1
; COMPUTE_PGM_RSRC2:TGID_Z_EN: 1
; COMPUTE_PGM_RSRC2:TIDIG_COMP_CNT: 0
	.section	.text._ZL16k_get_rows_floatI14__hip_bfloat16fEvPKT_PKiPT0_ll15HIP_vector_typeIjLj3EEmmmmmmmmm,"axG",@progbits,_ZL16k_get_rows_floatI14__hip_bfloat16fEvPKT_PKiPT0_ll15HIP_vector_typeIjLj3EEmmmmmmmmm,comdat
	.globl	_ZL16k_get_rows_floatI14__hip_bfloat16fEvPKT_PKiPT0_ll15HIP_vector_typeIjLj3EEmmmmmmmmm ; -- Begin function _ZL16k_get_rows_floatI14__hip_bfloat16fEvPKT_PKiPT0_ll15HIP_vector_typeIjLj3EEmmmmmmmmm
	.p2align	8
	.type	_ZL16k_get_rows_floatI14__hip_bfloat16fEvPKT_PKiPT0_ll15HIP_vector_typeIjLj3EEmmmmmmmmm,@function
_ZL16k_get_rows_floatI14__hip_bfloat16fEvPKT_PKiPT0_ll15HIP_vector_typeIjLj3EEmmmmmmmmm: ; @_ZL16k_get_rows_floatI14__hip_bfloat16fEvPKT_PKiPT0_ll15HIP_vector_typeIjLj3EEmmmmmmmmm
; %bb.0:
	s_clause 0x1
	s_load_b64 s[2:3], s[0:1], 0x2c
	s_load_b64 s[4:5], s[0:1], 0x20
	s_bfe_u32 s6, ttmp6, 0x40014
	s_lshr_b32 s8, ttmp7, 16
	s_add_co_i32 s6, s6, 1
	s_bfe_u32 s7, ttmp6, 0x40008
	s_mul_i32 s6, s8, s6
	s_mov_b32 s29, 0
	s_getreg_b32 s39, hwreg(HW_REG_IB_STS2, 6, 4)
	s_add_co_i32 s9, s7, s6
	s_cmp_eq_u32 s39, 0
	s_mov_b32 s7, s29
	s_cselect_b32 s28, s8, s9
	s_wait_kmcnt 0x0
	s_mov_b32 s6, s3
	s_delay_alu instid0(SALU_CYCLE_1) | instskip(NEXT) | instid1(SALU_CYCLE_1)
	s_mul_u64 s[30:31], s[4:5], s[6:7]
	v_cmp_le_i64_e64 s4, s[30:31], s[28:29]
	s_and_b32 vcc_lo, exec_lo, s4
	s_cbranch_vccnz .LBB3_6
; %bb.1:
	s_clause 0x4
	s_load_b64 s[34:35], s[0:1], 0x88
	s_load_b64 s[36:37], s[0:1], 0x78
	s_load_b256 s[20:27], s[0:1], 0x0
	s_load_b32 s38, s[0:1], 0x28
	s_load_b512 s[4:19], s[0:1], 0x38
	s_bfe_u32 s40, ttmp6, 0x4000c
	s_bfe_u32 s42, ttmp6, 0x40010
	s_and_b32 s41, ttmp7, 0xffff
	s_add_co_i32 s40, s40, 1
	s_add_co_i32 s42, s42, 1
	s_and_b32 s33, ttmp6, 15
	s_bfe_u32 s43, ttmp6, 0x40004
	s_mul_i32 s40, ttmp9, s40
	s_mul_i32 s42, s41, s42
	s_add_co_i32 s44, s33, s40
	s_add_co_i32 s43, s43, s42
	v_mov_b32_e32 v1, 0
	s_wait_kmcnt 0x0
	s_and_b32 s33, s35, 0xffff
	s_cmp_eq_u32 s39, 0
	s_mov_b32 s39, s29
	s_cselect_b32 s35, s41, s43
	s_add_nc_u64 s[40:41], s[0:1], 0x80
	v_mad_u32 v0, s35, s33, v0
	s_cselect_b32 s0, ttmp9, s44
	s_mov_b32 s35, s29
	s_ashr_i32 s1, s0, 31
	s_lshl_b64 s[6:7], s[6:7], 2
	s_mul_u64 s[16:17], s[16:17], s[0:1]
	s_mul_u64 s[0:1], s[4:5], s[0:1]
	s_lshl_b64 s[4:5], s[16:17], 2
	s_lshl_b64 s[0:1], s[0:1], 2
	s_add_nc_u64 s[4:5], s[22:23], s[4:5]
	s_add_nc_u64 s[22:23], s[24:25], s[0:1]
	v_cmp_gt_i64_e64 s0, s[26:27], v[0:1]
	v_lshl_add_u64 v[2:3], v[0:1], 2, s[22:23]
	v_lshl_add_u64 v[4:5], v[0:1], 1, s[20:21]
	s_mov_b64 s[16:17], 0xffffffff
	s_lshl_b64 s[8:9], s[8:9], 2
	s_mov_b64 s[20:21], s[28:29]
	s_branch .LBB3_3
.LBB3_2:                                ;   in Loop: Header=BB3_3 Depth=1
	s_or_b32 exec_lo, exec_lo, s1
	s_add_nc_u64 s[20:21], s[20:21], s[34:35]
	s_delay_alu instid0(SALU_CYCLE_1)
	v_cmp_lt_i64_e64 s1, s[20:21], s[30:31]
	s_and_b32 vcc_lo, exec_lo, s1
	s_cbranch_vccz .LBB3_6
.LBB3_3:                                ; =>This Loop Header: Depth=1
                                        ;     Child Loop BB3_5 Depth 2
	s_and_saveexec_b32 s1, s0
	s_cbranch_execz .LBB3_2
; %bb.4:                                ;   in Loop: Header=BB3_3 Depth=1
	s_and_b64 s[22:23], s[20:21], s[16:17]
	v_mov_b64_e32 v[10:11], v[0:1]
	s_mul_u64 s[22:23], s[22:23], s[38:39]
	s_delay_alu instid0(SALU_CYCLE_1) | instskip(NEXT) | instid1(SALU_CYCLE_1)
	s_add_co_i32 s22, s23, s20
	s_lshr_b32 s22, s22, s2
	s_delay_alu instid0(SALU_CYCLE_1)
	s_mul_i32 s24, s22, s3
	s_ashr_i32 s23, s22, 31
	s_sub_co_i32 s24, s20, s24
	s_mul_u64 s[42:43], s[18:19], s[22:23]
	s_ashr_i32 s25, s24, 31
	s_lshl_b64 s[42:43], s[42:43], 2
	s_mul_u64 s[44:45], s[36:37], s[24:25]
	s_add_nc_u64 s[42:43], s[4:5], s[42:43]
	s_lshl_b64 s[44:45], s[44:45], 2
	s_mul_u64 s[46:47], s[8:9], s[24:25]
	s_add_nc_u64 s[42:43], s[42:43], s[44:45]
	s_mul_u64 s[24:25], s[14:15], s[24:25]
	s_load_b32 s44, s[42:43], 0x0
	s_load_b32 s28, s[40:41], 0x4
	s_wait_xcnt 0x0
	s_mul_u64 s[42:43], s[12:13], s[22:23]
	s_mul_u64 s[22:23], s[6:7], s[22:23]
	s_delay_alu instid0(SALU_CYCLE_1) | instskip(NEXT) | instid1(SALU_CYCLE_1)
	s_add_nc_u64 s[22:23], s[22:23], s[46:47]
	v_add_nc_u64_e32 v[6:7], s[22:23], v[2:3]
	s_wait_kmcnt 0x0
	s_ashr_i32 s45, s44, 31
	s_mul_i32 s28, s28, s33
	s_mul_u64 s[44:45], s[10:11], s[44:45]
	s_lshl_b64 s[22:23], s[28:29], 2
	s_add_nc_u64 s[42:43], s[42:43], s[44:45]
	s_delay_alu instid0(SALU_CYCLE_1)
	s_add_nc_u64 s[24:25], s[42:43], s[24:25]
	s_mov_b32 s42, 0
	v_add_nc_u64_e32 v[8:9], s[24:25], v[4:5]
	s_lshl_b64 s[24:25], s[28:29], 1
.LBB3_5:                                ;   Parent Loop BB3_3 Depth=1
                                        ; =>  This Inner Loop Header: Depth=2
	global_load_u16 v12, v[8:9], off
	v_add_nc_u64_e32 v[10:11], s[28:29], v[10:11]
	s_wait_xcnt 0x0
	v_add_nc_u64_e32 v[8:9], s[24:25], v[8:9]
	s_delay_alu instid0(VALU_DEP_2)
	v_cmp_le_i64_e32 vcc_lo, s[26:27], v[10:11]
	s_or_b32 s42, vcc_lo, s42
	s_wait_loadcnt 0x0
	v_lshlrev_b32_e32 v12, 16, v12
	global_store_b32 v[6:7], v12, off
	s_wait_xcnt 0x0
	v_add_nc_u64_e32 v[6:7], s[22:23], v[6:7]
	s_and_not1_b32 exec_lo, exec_lo, s42
	s_cbranch_execnz .LBB3_5
	s_branch .LBB3_2
.LBB3_6:
	s_endpgm
	.section	.rodata,"a",@progbits
	.p2align	6, 0x0
	.amdhsa_kernel _ZL16k_get_rows_floatI14__hip_bfloat16fEvPKT_PKiPT0_ll15HIP_vector_typeIjLj3EEmmmmmmmmm
		.amdhsa_group_segment_fixed_size 0
		.amdhsa_private_segment_fixed_size 0
		.amdhsa_kernarg_size 384
		.amdhsa_user_sgpr_count 2
		.amdhsa_user_sgpr_dispatch_ptr 0
		.amdhsa_user_sgpr_queue_ptr 0
		.amdhsa_user_sgpr_kernarg_segment_ptr 1
		.amdhsa_user_sgpr_dispatch_id 0
		.amdhsa_user_sgpr_kernarg_preload_length 0
		.amdhsa_user_sgpr_kernarg_preload_offset 0
		.amdhsa_user_sgpr_private_segment_size 0
		.amdhsa_wavefront_size32 1
		.amdhsa_uses_dynamic_stack 0
		.amdhsa_enable_private_segment 0
		.amdhsa_system_sgpr_workgroup_id_x 1
		.amdhsa_system_sgpr_workgroup_id_y 1
		.amdhsa_system_sgpr_workgroup_id_z 1
		.amdhsa_system_sgpr_workgroup_info 0
		.amdhsa_system_vgpr_workitem_id 0
		.amdhsa_next_free_vgpr 13
		.amdhsa_next_free_sgpr 48
		.amdhsa_named_barrier_count 0
		.amdhsa_reserve_vcc 1
		.amdhsa_float_round_mode_32 0
		.amdhsa_float_round_mode_16_64 0
		.amdhsa_float_denorm_mode_32 3
		.amdhsa_float_denorm_mode_16_64 3
		.amdhsa_fp16_overflow 0
		.amdhsa_memory_ordered 1
		.amdhsa_forward_progress 1
		.amdhsa_inst_pref_size 5
		.amdhsa_round_robin_scheduling 0
		.amdhsa_exception_fp_ieee_invalid_op 0
		.amdhsa_exception_fp_denorm_src 0
		.amdhsa_exception_fp_ieee_div_zero 0
		.amdhsa_exception_fp_ieee_overflow 0
		.amdhsa_exception_fp_ieee_underflow 0
		.amdhsa_exception_fp_ieee_inexact 0
		.amdhsa_exception_int_div_zero 0
	.end_amdhsa_kernel
	.section	.text._ZL16k_get_rows_floatI14__hip_bfloat16fEvPKT_PKiPT0_ll15HIP_vector_typeIjLj3EEmmmmmmmmm,"axG",@progbits,_ZL16k_get_rows_floatI14__hip_bfloat16fEvPKT_PKiPT0_ll15HIP_vector_typeIjLj3EEmmmmmmmmm,comdat
.Lfunc_end3:
	.size	_ZL16k_get_rows_floatI14__hip_bfloat16fEvPKT_PKiPT0_ll15HIP_vector_typeIjLj3EEmmmmmmmmm, .Lfunc_end3-_ZL16k_get_rows_floatI14__hip_bfloat16fEvPKT_PKiPT0_ll15HIP_vector_typeIjLj3EEmmmmmmmmm
                                        ; -- End function
	.set _ZL16k_get_rows_floatI14__hip_bfloat16fEvPKT_PKiPT0_ll15HIP_vector_typeIjLj3EEmmmmmmmmm.num_vgpr, 13
	.set _ZL16k_get_rows_floatI14__hip_bfloat16fEvPKT_PKiPT0_ll15HIP_vector_typeIjLj3EEmmmmmmmmm.num_agpr, 0
	.set _ZL16k_get_rows_floatI14__hip_bfloat16fEvPKT_PKiPT0_ll15HIP_vector_typeIjLj3EEmmmmmmmmm.numbered_sgpr, 48
	.set _ZL16k_get_rows_floatI14__hip_bfloat16fEvPKT_PKiPT0_ll15HIP_vector_typeIjLj3EEmmmmmmmmm.num_named_barrier, 0
	.set _ZL16k_get_rows_floatI14__hip_bfloat16fEvPKT_PKiPT0_ll15HIP_vector_typeIjLj3EEmmmmmmmmm.private_seg_size, 0
	.set _ZL16k_get_rows_floatI14__hip_bfloat16fEvPKT_PKiPT0_ll15HIP_vector_typeIjLj3EEmmmmmmmmm.uses_vcc, 1
	.set _ZL16k_get_rows_floatI14__hip_bfloat16fEvPKT_PKiPT0_ll15HIP_vector_typeIjLj3EEmmmmmmmmm.uses_flat_scratch, 0
	.set _ZL16k_get_rows_floatI14__hip_bfloat16fEvPKT_PKiPT0_ll15HIP_vector_typeIjLj3EEmmmmmmmmm.has_dyn_sized_stack, 0
	.set _ZL16k_get_rows_floatI14__hip_bfloat16fEvPKT_PKiPT0_ll15HIP_vector_typeIjLj3EEmmmmmmmmm.has_recursion, 0
	.set _ZL16k_get_rows_floatI14__hip_bfloat16fEvPKT_PKiPT0_ll15HIP_vector_typeIjLj3EEmmmmmmmmm.has_indirect_call, 0
	.section	.AMDGPU.csdata,"",@progbits
; Kernel info:
; codeLenInByte = 612
; TotalNumSgprs: 50
; NumVgprs: 13
; ScratchSize: 0
; MemoryBound: 0
; FloatMode: 240
; IeeeMode: 1
; LDSByteSize: 0 bytes/workgroup (compile time only)
; SGPRBlocks: 0
; VGPRBlocks: 0
; NumSGPRsForWavesPerEU: 50
; NumVGPRsForWavesPerEU: 13
; NamedBarCnt: 0
; Occupancy: 16
; WaveLimiterHint : 1
; COMPUTE_PGM_RSRC2:SCRATCH_EN: 0
; COMPUTE_PGM_RSRC2:USER_SGPR: 2
; COMPUTE_PGM_RSRC2:TRAP_HANDLER: 0
; COMPUTE_PGM_RSRC2:TGID_X_EN: 1
; COMPUTE_PGM_RSRC2:TGID_Y_EN: 1
; COMPUTE_PGM_RSRC2:TGID_Z_EN: 1
; COMPUTE_PGM_RSRC2:TIDIG_COMP_CNT: 0
	.section	.text._ZL10k_get_rowsILi128ELi1EXadL_ZL15dequantize_q1_0PKvliR15HIP_vector_typeIfLj2EEEEfEvS1_PKiPT2_llS2_IjLj3EEmmmmmmmmm,"axG",@progbits,_ZL10k_get_rowsILi128ELi1EXadL_ZL15dequantize_q1_0PKvliR15HIP_vector_typeIfLj2EEEEfEvS1_PKiPT2_llS2_IjLj3EEmmmmmmmmm,comdat
	.globl	_ZL10k_get_rowsILi128ELi1EXadL_ZL15dequantize_q1_0PKvliR15HIP_vector_typeIfLj2EEEEfEvS1_PKiPT2_llS2_IjLj3EEmmmmmmmmm ; -- Begin function _ZL10k_get_rowsILi128ELi1EXadL_ZL15dequantize_q1_0PKvliR15HIP_vector_typeIfLj2EEEEfEvS1_PKiPT2_llS2_IjLj3EEmmmmmmmmm
	.p2align	8
	.type	_ZL10k_get_rowsILi128ELi1EXadL_ZL15dequantize_q1_0PKvliR15HIP_vector_typeIfLj2EEEEfEvS1_PKiPT2_llS2_IjLj3EEmmmmmmmmm,@function
_ZL10k_get_rowsILi128ELi1EXadL_ZL15dequantize_q1_0PKvliR15HIP_vector_typeIfLj2EEEEfEvS1_PKiPT2_llS2_IjLj3EEmmmmmmmmm: ; @_ZL10k_get_rowsILi128ELi1EXadL_ZL15dequantize_q1_0PKvliR15HIP_vector_typeIfLj2EEEEfEvS1_PKiPT2_llS2_IjLj3EEmmmmmmmmm
; %bb.0:
	s_clause 0x1
	s_load_b64 s[2:3], s[0:1], 0x2c
	s_load_b128 s[20:23], s[0:1], 0x18
	s_bfe_u32 s4, ttmp6, 0x40014
	s_lshr_b32 s6, ttmp7, 16
	s_add_co_i32 s4, s4, 1
	s_bfe_u32 s5, ttmp6, 0x40008
	s_mul_i32 s4, s6, s4
	s_mov_b32 s29, 0
	s_getreg_b32 s38, hwreg(HW_REG_IB_STS2, 6, 4)
	s_add_co_i32 s7, s5, s4
	s_cmp_eq_u32 s38, 0
	s_mov_b32 s5, s29
	s_cselect_b32 s28, s6, s7
	s_wait_kmcnt 0x0
	s_mov_b32 s4, s3
	s_delay_alu instid0(SALU_CYCLE_1) | instskip(NEXT) | instid1(SALU_CYCLE_1)
	s_mul_u64 s[22:23], s[22:23], s[4:5]
	v_cmp_le_i64_e64 s4, s[22:23], s[28:29]
	s_and_b32 vcc_lo, exec_lo, s4
	s_cbranch_vccnz .LBB4_6
; %bb.1:
	s_clause 0x5
	s_load_b64 s[30:31], s[0:1], 0x88
	s_load_b64 s[34:35], s[0:1], 0x78
	s_load_b128 s[24:27], s[0:1], 0x0
	s_load_b64 s[40:41], s[0:1], 0x10
	s_load_b32 s36, s[0:1], 0x28
	s_load_b512 s[4:19], s[0:1], 0x38
	s_bfe_u32 s39, ttmp6, 0x4000c
	s_bfe_u32 s43, ttmp6, 0x40010
	s_and_b32 s42, ttmp7, 0xffff
	s_add_co_i32 s39, s39, 1
	s_add_co_i32 s43, s43, 1
	s_and_b32 s33, ttmp6, 15
	s_bfe_u32 s44, ttmp6, 0x40004
	s_mul_i32 s39, ttmp9, s39
	s_mul_i32 s43, s42, s43
	s_add_co_i32 s39, s33, s39
	s_add_co_i32 s44, s44, s43
	s_mov_b32 s37, s29
	s_wait_kmcnt 0x0
	s_and_b32 s33, s31, 0xffff
	s_cmp_eq_u32 s38, 0
	s_cselect_b32 s31, s42, s44
	s_cselect_b32 s38, ttmp9, s39
	s_mul_i32 s31, s31, s33
	s_ashr_i32 s39, s38, 31
	v_add_lshl_u32 v0, s31, v0, 1
	v_mov_b32_e32 v1, 0
	s_mul_u64 s[42:43], s[16:17], s[38:39]
	s_add_nc_u64 s[16:17], s[0:1], 0x80
	s_lshl_b64 s[0:1], s[42:43], 2
	s_mul_u64 s[38:39], s[4:5], s[38:39]
	s_add_nc_u64 s[4:5], s[26:27], s[0:1]
	v_mov_b32_e32 v7, v0
	v_mov_b64_e32 v[2:3], v[0:1]
	v_cmp_gt_i64_e64 s0, s[20:21], v[0:1]
	v_lshlrev_b64_e32 v[4:5], 25, v[0:1]
	v_mov_b32_e32 v6, v1
	s_lshl_b64 s[38:39], s[38:39], 2
	s_mov_b64 s[26:27], 0xffffffff
	s_add_nc_u64 s[38:39], s[40:41], s[38:39]
	s_mov_b32 s31, s29
	s_mov_b64 s[40:41], s[28:29]
	s_branch .LBB4_3
.LBB4_2:                                ;   in Loop: Header=BB4_3 Depth=1
	s_or_b32 exec_lo, exec_lo, s1
	s_add_nc_u64 s[40:41], s[40:41], s[30:31]
	s_delay_alu instid0(SALU_CYCLE_1)
	v_cmp_ge_i64_e64 s1, s[40:41], s[22:23]
	s_and_b32 vcc_lo, exec_lo, s1
	s_cbranch_vccnz .LBB4_6
.LBB4_3:                                ; =>This Loop Header: Depth=1
                                        ;     Child Loop BB4_5 Depth 2
	s_and_saveexec_b32 s1, s0
	s_cbranch_execz .LBB4_2
; %bb.4:                                ;   in Loop: Header=BB4_3 Depth=1
	s_and_b64 s[42:43], s[40:41], s[26:27]
	v_mov_b64_e32 v[8:9], v[6:7]
	s_mul_u64 s[42:43], s[42:43], s[36:37]
	v_mov_b64_e32 v[10:11], v[4:5]
	s_add_co_i32 s28, s43, s40
	v_mov_b64_e32 v[12:13], v[2:3]
	s_lshr_b32 s44, s28, s2
	s_delay_alu instid0(SALU_CYCLE_1)
	s_mul_i32 s28, s44, s3
	s_ashr_i32 s45, s44, 31
	s_sub_co_i32 s46, s40, s28
	s_mul_u64 s[42:43], s[18:19], s[44:45]
	s_ashr_i32 s47, s46, 31
	s_lshl_b64 s[42:43], s[42:43], 2
	s_mul_u64 s[48:49], s[34:35], s[46:47]
	s_add_nc_u64 s[42:43], s[4:5], s[42:43]
	s_lshl_b64 s[48:49], s[48:49], 2
	s_mul_u64 s[50:51], s[6:7], s[44:45]
	s_add_nc_u64 s[42:43], s[42:43], s[48:49]
	s_lshl_b64 s[50:51], s[50:51], 2
	s_load_b32 s48, s[42:43], 0x0
	s_load_b32 s28, s[16:17], 0x4
	s_mul_u64 s[52:53], s[12:13], s[44:45]
	s_add_nc_u64 s[44:45], s[38:39], s[50:51]
	s_mul_u64 s[50:51], s[8:9], s[46:47]
	s_mul_u64 s[54:55], s[14:15], s[46:47]
	s_lshl_b64 s[46:47], s[50:51], 2
	s_wait_xcnt 0x0
	s_mov_b32 s42, 0
	s_add_nc_u64 s[44:45], s[44:45], s[46:47]
	s_mov_b32 s50, s42
	s_wait_kmcnt 0x0
	s_ashr_i32 s49, s48, 31
	s_mul_i32 s28, s28, s33
	s_mul_u64 s[46:47], s[10:11], s[48:49]
	s_mov_b32 s43, s28
	s_add_nc_u64 s[48:49], s[24:25], s[46:47]
	s_lshl_b64 s[46:47], s[28:29], 25
	s_add_nc_u64 s[48:49], s[48:49], s[52:53]
	s_delay_alu instid0(SALU_CYCLE_1)
	s_add_nc_u64 s[48:49], s[48:49], s[54:55]
.LBB4_5:                                ;   Parent Loop BB4_3 Depth=1
                                        ; =>  This Inner Loop Header: Depth=2
	v_and_b32_e32 v0, 0x7f, v12
	v_mad_nc_i64_i32 v[14:15], v11, 18, s[48:49]
	v_add_nc_u64_e32 v[10:11], s[46:47], v[10:11]
	s_delay_alu instid0(VALU_DEP_3) | instskip(SKIP_1) | instid1(VALU_DEP_2)
	v_dual_mov_b32 v17, v1 :: v_dual_add_nc_u32 v20, 1, v0
	v_bfe_u32 v0, v12, 3, 4
	v_lshrrev_b32_e32 v16, 3, v20
	s_delay_alu instid0(VALU_DEP_2) | instskip(NEXT) | instid1(VALU_DEP_2)
	v_add_nc_u64_e32 v[18:19], v[14:15], v[0:1]
	v_add_nc_u64_e32 v[16:17], v[14:15], v[16:17]
	s_clause 0x2
	global_load_u16 v0, v[14:15], off
	global_load_u8 v21, v[18:19], off offset:2
	global_load_u8 v22, v[16:17], off offset:2
	s_wait_xcnt 0x2
	v_and_b32_e32 v15, 7, v20
	v_and_b32_e32 v14, 7, v12
	v_add_nc_u64_e32 v[12:13], s[28:29], v[12:13]
	s_delay_alu instid0(VALU_DEP_1)
	v_cmp_le_i64_e32 vcc_lo, s[20:21], v[12:13]
	s_or_b32 s50, vcc_lo, s50
	s_wait_loadcnt 0x2
	v_cvt_f32_f16_e32 v0, v0
	s_wait_loadcnt 0x0
	v_dual_lshrrev_b32 v15, v15, v22 :: v_dual_lshrrev_b32 v14, v14, v21
	s_delay_alu instid0(VALU_DEP_1) | instskip(NEXT) | instid1(VALU_DEP_1)
	v_dual_lshlrev_b32 v15, 1, v15 :: v_dual_lshlrev_b32 v14, 1, v14
	v_and_b32_e32 v15, 2, v15
	s_wait_xcnt 0x0
	s_delay_alu instid0(VALU_DEP_1) | instskip(NEXT) | instid1(VALU_DEP_1)
	v_dual_add_nc_u32 v17, -1, v15 :: v_dual_bitop2_b32 v14, 2, v14 bitop3:0x40
	v_cvt_f32_i32_e32 v17, v17
	s_delay_alu instid0(VALU_DEP_2) | instskip(SKIP_2) | instid1(VALU_DEP_4)
	v_add_nc_u32_e32 v16, -1, v14
	v_ashrrev_i64 v[14:15], 30, v[8:9]
	v_add_nc_u64_e32 v[8:9], s[42:43], v[8:9]
	v_mul_f32_e32 v17, v0, v17
	s_delay_alu instid0(VALU_DEP_4) | instskip(NEXT) | instid1(VALU_DEP_4)
	v_cvt_f32_i32_e32 v16, v16
	v_add_nc_u64_e32 v[14:15], s[44:45], v[14:15]
	s_delay_alu instid0(VALU_DEP_2)
	v_mul_f32_e32 v16, v0, v16
	global_store_b64 v[14:15], v[16:17], off
	s_wait_xcnt 0x0
	s_and_not1_b32 exec_lo, exec_lo, s50
	s_cbranch_execnz .LBB4_5
	s_branch .LBB4_2
.LBB4_6:
	s_endpgm
	.section	.rodata,"a",@progbits
	.p2align	6, 0x0
	.amdhsa_kernel _ZL10k_get_rowsILi128ELi1EXadL_ZL15dequantize_q1_0PKvliR15HIP_vector_typeIfLj2EEEEfEvS1_PKiPT2_llS2_IjLj3EEmmmmmmmmm
		.amdhsa_group_segment_fixed_size 0
		.amdhsa_private_segment_fixed_size 0
		.amdhsa_kernarg_size 384
		.amdhsa_user_sgpr_count 2
		.amdhsa_user_sgpr_dispatch_ptr 0
		.amdhsa_user_sgpr_queue_ptr 0
		.amdhsa_user_sgpr_kernarg_segment_ptr 1
		.amdhsa_user_sgpr_dispatch_id 0
		.amdhsa_user_sgpr_kernarg_preload_length 0
		.amdhsa_user_sgpr_kernarg_preload_offset 0
		.amdhsa_user_sgpr_private_segment_size 0
		.amdhsa_wavefront_size32 1
		.amdhsa_uses_dynamic_stack 0
		.amdhsa_enable_private_segment 0
		.amdhsa_system_sgpr_workgroup_id_x 1
		.amdhsa_system_sgpr_workgroup_id_y 1
		.amdhsa_system_sgpr_workgroup_id_z 1
		.amdhsa_system_sgpr_workgroup_info 0
		.amdhsa_system_vgpr_workitem_id 0
		.amdhsa_next_free_vgpr 23
		.amdhsa_next_free_sgpr 56
		.amdhsa_named_barrier_count 0
		.amdhsa_reserve_vcc 1
		.amdhsa_float_round_mode_32 0
		.amdhsa_float_round_mode_16_64 0
		.amdhsa_float_denorm_mode_32 3
		.amdhsa_float_denorm_mode_16_64 3
		.amdhsa_fp16_overflow 0
		.amdhsa_memory_ordered 1
		.amdhsa_forward_progress 1
		.amdhsa_inst_pref_size 7
		.amdhsa_round_robin_scheduling 0
		.amdhsa_exception_fp_ieee_invalid_op 0
		.amdhsa_exception_fp_denorm_src 0
		.amdhsa_exception_fp_ieee_div_zero 0
		.amdhsa_exception_fp_ieee_overflow 0
		.amdhsa_exception_fp_ieee_underflow 0
		.amdhsa_exception_fp_ieee_inexact 0
		.amdhsa_exception_int_div_zero 0
	.end_amdhsa_kernel
	.section	.text._ZL10k_get_rowsILi128ELi1EXadL_ZL15dequantize_q1_0PKvliR15HIP_vector_typeIfLj2EEEEfEvS1_PKiPT2_llS2_IjLj3EEmmmmmmmmm,"axG",@progbits,_ZL10k_get_rowsILi128ELi1EXadL_ZL15dequantize_q1_0PKvliR15HIP_vector_typeIfLj2EEEEfEvS1_PKiPT2_llS2_IjLj3EEmmmmmmmmm,comdat
.Lfunc_end4:
	.size	_ZL10k_get_rowsILi128ELi1EXadL_ZL15dequantize_q1_0PKvliR15HIP_vector_typeIfLj2EEEEfEvS1_PKiPT2_llS2_IjLj3EEmmmmmmmmm, .Lfunc_end4-_ZL10k_get_rowsILi128ELi1EXadL_ZL15dequantize_q1_0PKvliR15HIP_vector_typeIfLj2EEEEfEvS1_PKiPT2_llS2_IjLj3EEmmmmmmmmm
                                        ; -- End function
	.set _ZL10k_get_rowsILi128ELi1EXadL_ZL15dequantize_q1_0PKvliR15HIP_vector_typeIfLj2EEEEfEvS1_PKiPT2_llS2_IjLj3EEmmmmmmmmm.num_vgpr, 23
	.set _ZL10k_get_rowsILi128ELi1EXadL_ZL15dequantize_q1_0PKvliR15HIP_vector_typeIfLj2EEEEfEvS1_PKiPT2_llS2_IjLj3EEmmmmmmmmm.num_agpr, 0
	.set _ZL10k_get_rowsILi128ELi1EXadL_ZL15dequantize_q1_0PKvliR15HIP_vector_typeIfLj2EEEEfEvS1_PKiPT2_llS2_IjLj3EEmmmmmmmmm.numbered_sgpr, 56
	.set _ZL10k_get_rowsILi128ELi1EXadL_ZL15dequantize_q1_0PKvliR15HIP_vector_typeIfLj2EEEEfEvS1_PKiPT2_llS2_IjLj3EEmmmmmmmmm.num_named_barrier, 0
	.set _ZL10k_get_rowsILi128ELi1EXadL_ZL15dequantize_q1_0PKvliR15HIP_vector_typeIfLj2EEEEfEvS1_PKiPT2_llS2_IjLj3EEmmmmmmmmm.private_seg_size, 0
	.set _ZL10k_get_rowsILi128ELi1EXadL_ZL15dequantize_q1_0PKvliR15HIP_vector_typeIfLj2EEEEfEvS1_PKiPT2_llS2_IjLj3EEmmmmmmmmm.uses_vcc, 1
	.set _ZL10k_get_rowsILi128ELi1EXadL_ZL15dequantize_q1_0PKvliR15HIP_vector_typeIfLj2EEEEfEvS1_PKiPT2_llS2_IjLj3EEmmmmmmmmm.uses_flat_scratch, 0
	.set _ZL10k_get_rowsILi128ELi1EXadL_ZL15dequantize_q1_0PKvliR15HIP_vector_typeIfLj2EEEEfEvS1_PKiPT2_llS2_IjLj3EEmmmmmmmmm.has_dyn_sized_stack, 0
	.set _ZL10k_get_rowsILi128ELi1EXadL_ZL15dequantize_q1_0PKvliR15HIP_vector_typeIfLj2EEEEfEvS1_PKiPT2_llS2_IjLj3EEmmmmmmmmm.has_recursion, 0
	.set _ZL10k_get_rowsILi128ELi1EXadL_ZL15dequantize_q1_0PKvliR15HIP_vector_typeIfLj2EEEEfEvS1_PKiPT2_llS2_IjLj3EEmmmmmmmmm.has_indirect_call, 0
	.section	.AMDGPU.csdata,"",@progbits
; Kernel info:
; codeLenInByte = 816
; TotalNumSgprs: 58
; NumVgprs: 23
; ScratchSize: 0
; MemoryBound: 0
; FloatMode: 240
; IeeeMode: 1
; LDSByteSize: 0 bytes/workgroup (compile time only)
; SGPRBlocks: 0
; VGPRBlocks: 1
; NumSGPRsForWavesPerEU: 58
; NumVGPRsForWavesPerEU: 23
; NamedBarCnt: 0
; Occupancy: 16
; WaveLimiterHint : 1
; COMPUTE_PGM_RSRC2:SCRATCH_EN: 0
; COMPUTE_PGM_RSRC2:USER_SGPR: 2
; COMPUTE_PGM_RSRC2:TRAP_HANDLER: 0
; COMPUTE_PGM_RSRC2:TGID_X_EN: 1
; COMPUTE_PGM_RSRC2:TGID_Y_EN: 1
; COMPUTE_PGM_RSRC2:TGID_Z_EN: 1
; COMPUTE_PGM_RSRC2:TIDIG_COMP_CNT: 0
	.section	.text._ZL10k_get_rowsILi32ELi2EXadL_ZL15dequantize_q4_0PKvliR15HIP_vector_typeIfLj2EEEEfEvS1_PKiPT2_llS2_IjLj3EEmmmmmmmmm,"axG",@progbits,_ZL10k_get_rowsILi32ELi2EXadL_ZL15dequantize_q4_0PKvliR15HIP_vector_typeIfLj2EEEEfEvS1_PKiPT2_llS2_IjLj3EEmmmmmmmmm,comdat
	.globl	_ZL10k_get_rowsILi32ELi2EXadL_ZL15dequantize_q4_0PKvliR15HIP_vector_typeIfLj2EEEEfEvS1_PKiPT2_llS2_IjLj3EEmmmmmmmmm ; -- Begin function _ZL10k_get_rowsILi32ELi2EXadL_ZL15dequantize_q4_0PKvliR15HIP_vector_typeIfLj2EEEEfEvS1_PKiPT2_llS2_IjLj3EEmmmmmmmmm
	.p2align	8
	.type	_ZL10k_get_rowsILi32ELi2EXadL_ZL15dequantize_q4_0PKvliR15HIP_vector_typeIfLj2EEEEfEvS1_PKiPT2_llS2_IjLj3EEmmmmmmmmm,@function
_ZL10k_get_rowsILi32ELi2EXadL_ZL15dequantize_q4_0PKvliR15HIP_vector_typeIfLj2EEEEfEvS1_PKiPT2_llS2_IjLj3EEmmmmmmmmm: ; @_ZL10k_get_rowsILi32ELi2EXadL_ZL15dequantize_q4_0PKvliR15HIP_vector_typeIfLj2EEEEfEvS1_PKiPT2_llS2_IjLj3EEmmmmmmmmm
; %bb.0:
	s_clause 0x1
	s_load_b64 s[2:3], s[0:1], 0x2c
	s_load_b128 s[20:23], s[0:1], 0x18
	s_bfe_u32 s4, ttmp6, 0x40014
	s_lshr_b32 s6, ttmp7, 16
	s_add_co_i32 s4, s4, 1
	s_bfe_u32 s5, ttmp6, 0x40008
	s_mul_i32 s4, s6, s4
	s_mov_b32 s29, 0
	s_getreg_b32 s38, hwreg(HW_REG_IB_STS2, 6, 4)
	s_add_co_i32 s7, s5, s4
	s_cmp_eq_u32 s38, 0
	s_mov_b32 s5, s29
	s_cselect_b32 s28, s6, s7
	s_wait_kmcnt 0x0
	s_mov_b32 s4, s3
	s_delay_alu instid0(SALU_CYCLE_1) | instskip(NEXT) | instid1(SALU_CYCLE_1)
	s_mul_u64 s[22:23], s[22:23], s[4:5]
	v_cmp_le_i64_e64 s4, s[22:23], s[28:29]
	s_and_b32 vcc_lo, exec_lo, s4
	s_cbranch_vccnz .LBB5_6
; %bb.1:
	s_clause 0x5
	s_load_b64 s[30:31], s[0:1], 0x88
	s_load_b64 s[34:35], s[0:1], 0x78
	s_load_b128 s[24:27], s[0:1], 0x0
	s_load_b64 s[40:41], s[0:1], 0x10
	s_load_b32 s36, s[0:1], 0x28
	s_load_b512 s[4:19], s[0:1], 0x38
	s_bfe_u32 s39, ttmp6, 0x4000c
	s_bfe_u32 s43, ttmp6, 0x40010
	s_and_b32 s42, ttmp7, 0xffff
	s_add_co_i32 s39, s39, 1
	s_add_co_i32 s43, s43, 1
	s_and_b32 s33, ttmp6, 15
	s_bfe_u32 s44, ttmp6, 0x40004
	s_mul_i32 s39, ttmp9, s39
	s_mul_i32 s43, s42, s43
	s_add_co_i32 s39, s33, s39
	s_add_co_i32 s44, s44, s43
	v_mov_b32_e32 v1, 0
	s_mov_b32 s37, s29
	s_wait_kmcnt 0x0
	s_and_b32 s33, s31, 0xffff
	s_cmp_eq_u32 s38, 0
	s_cselect_b32 s31, s42, s44
	s_cselect_b32 s42, ttmp9, s39
	s_mul_i32 s31, s31, s33
	s_ashr_i32 s43, s42, 31
	v_add_lshl_u32 v0, s31, v0, 1
	s_add_nc_u64 s[38:39], s[0:1], 0x80
	s_mul_u64 s[0:1], s[16:17], s[42:43]
	s_mul_u64 s[16:17], s[4:5], s[42:43]
	s_lshl_b64 s[42:43], s[0:1], 2
	v_mov_b64_e32 v[2:3], v[0:1]
	v_cmp_gt_i64_e64 s0, s[20:21], v[0:1]
	v_lshlrev_b64_e32 v[4:5], 27, v[0:1]
	s_lshl_b64 s[44:45], s[16:17], 2
	s_mov_b64 s[4:5], 0xffffffff
	s_add_nc_u64 s[16:17], s[26:27], s[42:43]
	s_add_nc_u64 s[26:27], s[40:41], s[44:45]
	s_mov_b32 s31, s29
	s_mov_b64 s[40:41], s[28:29]
	s_branch .LBB5_3
.LBB5_2:                                ;   in Loop: Header=BB5_3 Depth=1
	s_or_b32 exec_lo, exec_lo, s1
	s_add_nc_u64 s[40:41], s[40:41], s[30:31]
	s_delay_alu instid0(SALU_CYCLE_1)
	v_cmp_ge_i64_e64 s1, s[40:41], s[22:23]
	s_and_b32 vcc_lo, exec_lo, s1
	s_cbranch_vccnz .LBB5_6
.LBB5_3:                                ; =>This Loop Header: Depth=1
                                        ;     Child Loop BB5_5 Depth 2
	s_and_saveexec_b32 s1, s0
	s_cbranch_execz .LBB5_2
; %bb.4:                                ;   in Loop: Header=BB5_3 Depth=1
	s_and_b64 s[42:43], s[40:41], s[4:5]
	v_mov_b64_e32 v[6:7], v[4:5]
	s_mul_u64 s[42:43], s[42:43], s[36:37]
	v_mov_b64_e32 v[8:9], v[2:3]
	s_add_co_i32 s28, s43, s40
	s_delay_alu instid0(SALU_CYCLE_1) | instskip(NEXT) | instid1(SALU_CYCLE_1)
	s_lshr_b32 s42, s28, s2
	s_mul_i32 s28, s42, s3
	s_ashr_i32 s43, s42, 31
	s_sub_co_i32 s44, s40, s28
	s_mul_u64 s[46:47], s[18:19], s[42:43]
	s_ashr_i32 s45, s44, 31
	s_lshl_b64 s[46:47], s[46:47], 2
	s_mul_u64 s[48:49], s[34:35], s[44:45]
	s_add_nc_u64 s[46:47], s[16:17], s[46:47]
	s_lshl_b64 s[48:49], s[48:49], 2
	s_mul_u64 s[50:51], s[12:13], s[42:43]
	s_add_nc_u64 s[46:47], s[46:47], s[48:49]
	s_mul_u64 s[52:53], s[14:15], s[44:45]
	s_load_b32 s48, s[46:47], 0x0
	s_load_b32 s28, s[38:39], 0x4
	s_wait_xcnt 0x0
	s_mul_u64 s[46:47], s[6:7], s[42:43]
	s_delay_alu instid0(SALU_CYCLE_1) | instskip(NEXT) | instid1(SALU_CYCLE_1)
	s_lshl_b64 s[46:47], s[46:47], 2
	s_add_nc_u64 s[42:43], s[26:27], s[46:47]
	s_mul_u64 s[46:47], s[8:9], s[44:45]
	s_delay_alu instid0(SALU_CYCLE_1) | instskip(NEXT) | instid1(SALU_CYCLE_1)
	s_lshl_b64 s[44:45], s[46:47], 2
	s_add_nc_u64 s[42:43], s[42:43], s[44:45]
	s_wait_kmcnt 0x0
	s_ashr_i32 s49, s48, 31
	s_mul_i32 s28, s28, s33
	s_mul_u64 s[46:47], s[10:11], s[48:49]
	s_mov_b32 s48, 0
	s_add_nc_u64 s[44:45], s[24:25], s[46:47]
	s_delay_alu instid0(SALU_CYCLE_1)
	s_add_nc_u64 s[46:47], s[44:45], s[50:51]
	s_lshl_b64 s[44:45], s[28:29], 27
	s_add_nc_u64 s[46:47], s[46:47], s[52:53]
.LBB5_5:                                ;   Parent Loop BB5_3 Depth=1
                                        ; =>  This Inner Loop Header: Depth=2
	s_delay_alu instid0(SALU_CYCLE_1) | instskip(SKIP_2) | instid1(VALU_DEP_2)
	v_mad_nc_i64_i32 v[10:11], v7, 18, s[46:47]
	v_bfe_u32 v0, v8, 1, 4
	v_add_nc_u64_e32 v[6:7], s[44:45], v[6:7]
	v_add_nc_u64_e32 v[12:13], v[10:11], v[0:1]
	v_and_or_b32 v0, 0xffffffe0, v8, v0
	v_add_nc_u64_e32 v[8:9], s[28:29], v[8:9]
	s_clause 0x1
	global_load_u16 v14, v[10:11], off
	global_load_u8 v15, v[12:13], off offset:2
	v_cmp_le_i64_e32 vcc_lo, s[20:21], v[8:9]
	s_or_b32 s48, vcc_lo, s48
	s_wait_loadcnt 0x1
	s_wait_xcnt 0x0
	v_cvt_f32_f16_e32 v12, v14
	s_wait_loadcnt 0x0
	v_dual_lshrrev_b32 v11, 4, v15 :: v_dual_bitop2_b32 v10, 15, v15 bitop3:0x40
	s_delay_alu instid0(VALU_DEP_1) | instskip(NEXT) | instid1(VALU_DEP_1)
	v_dual_add_nc_u32 v10, -8, v10 :: v_dual_add_nc_u32 v11, -8, v11
	v_cvt_f32_i32_e32 v10, v10
	s_delay_alu instid0(VALU_DEP_2) | instskip(NEXT) | instid1(VALU_DEP_1)
	v_cvt_f32_i32_e32 v11, v11
	v_dual_mul_f32 v10, v12, v10 :: v_dual_mul_f32 v11, v12, v11
	s_clause 0x1
	global_store_b32 v0, v10, s[42:43] scale_offset
	global_store_b32 v0, v11, s[42:43] offset:64 scale_offset
	s_wait_xcnt 0x0
	s_and_not1_b32 exec_lo, exec_lo, s48
	s_cbranch_execnz .LBB5_5
	s_branch .LBB5_2
.LBB5_6:
	s_endpgm
	.section	.rodata,"a",@progbits
	.p2align	6, 0x0
	.amdhsa_kernel _ZL10k_get_rowsILi32ELi2EXadL_ZL15dequantize_q4_0PKvliR15HIP_vector_typeIfLj2EEEEfEvS1_PKiPT2_llS2_IjLj3EEmmmmmmmmm
		.amdhsa_group_segment_fixed_size 0
		.amdhsa_private_segment_fixed_size 0
		.amdhsa_kernarg_size 384
		.amdhsa_user_sgpr_count 2
		.amdhsa_user_sgpr_dispatch_ptr 0
		.amdhsa_user_sgpr_queue_ptr 0
		.amdhsa_user_sgpr_kernarg_segment_ptr 1
		.amdhsa_user_sgpr_dispatch_id 0
		.amdhsa_user_sgpr_kernarg_preload_length 0
		.amdhsa_user_sgpr_kernarg_preload_offset 0
		.amdhsa_user_sgpr_private_segment_size 0
		.amdhsa_wavefront_size32 1
		.amdhsa_uses_dynamic_stack 0
		.amdhsa_enable_private_segment 0
		.amdhsa_system_sgpr_workgroup_id_x 1
		.amdhsa_system_sgpr_workgroup_id_y 1
		.amdhsa_system_sgpr_workgroup_id_z 1
		.amdhsa_system_sgpr_workgroup_info 0
		.amdhsa_system_vgpr_workitem_id 0
		.amdhsa_next_free_vgpr 16
		.amdhsa_next_free_sgpr 54
		.amdhsa_named_barrier_count 0
		.amdhsa_reserve_vcc 1
		.amdhsa_float_round_mode_32 0
		.amdhsa_float_round_mode_16_64 0
		.amdhsa_float_denorm_mode_32 3
		.amdhsa_float_denorm_mode_16_64 3
		.amdhsa_fp16_overflow 0
		.amdhsa_memory_ordered 1
		.amdhsa_forward_progress 1
		.amdhsa_inst_pref_size 6
		.amdhsa_round_robin_scheduling 0
		.amdhsa_exception_fp_ieee_invalid_op 0
		.amdhsa_exception_fp_denorm_src 0
		.amdhsa_exception_fp_ieee_div_zero 0
		.amdhsa_exception_fp_ieee_overflow 0
		.amdhsa_exception_fp_ieee_underflow 0
		.amdhsa_exception_fp_ieee_inexact 0
		.amdhsa_exception_int_div_zero 0
	.end_amdhsa_kernel
	.section	.text._ZL10k_get_rowsILi32ELi2EXadL_ZL15dequantize_q4_0PKvliR15HIP_vector_typeIfLj2EEEEfEvS1_PKiPT2_llS2_IjLj3EEmmmmmmmmm,"axG",@progbits,_ZL10k_get_rowsILi32ELi2EXadL_ZL15dequantize_q4_0PKvliR15HIP_vector_typeIfLj2EEEEfEvS1_PKiPT2_llS2_IjLj3EEmmmmmmmmm,comdat
.Lfunc_end5:
	.size	_ZL10k_get_rowsILi32ELi2EXadL_ZL15dequantize_q4_0PKvliR15HIP_vector_typeIfLj2EEEEfEvS1_PKiPT2_llS2_IjLj3EEmmmmmmmmm, .Lfunc_end5-_ZL10k_get_rowsILi32ELi2EXadL_ZL15dequantize_q4_0PKvliR15HIP_vector_typeIfLj2EEEEfEvS1_PKiPT2_llS2_IjLj3EEmmmmmmmmm
                                        ; -- End function
	.set _ZL10k_get_rowsILi32ELi2EXadL_ZL15dequantize_q4_0PKvliR15HIP_vector_typeIfLj2EEEEfEvS1_PKiPT2_llS2_IjLj3EEmmmmmmmmm.num_vgpr, 16
	.set _ZL10k_get_rowsILi32ELi2EXadL_ZL15dequantize_q4_0PKvliR15HIP_vector_typeIfLj2EEEEfEvS1_PKiPT2_llS2_IjLj3EEmmmmmmmmm.num_agpr, 0
	.set _ZL10k_get_rowsILi32ELi2EXadL_ZL15dequantize_q4_0PKvliR15HIP_vector_typeIfLj2EEEEfEvS1_PKiPT2_llS2_IjLj3EEmmmmmmmmm.numbered_sgpr, 54
	.set _ZL10k_get_rowsILi32ELi2EXadL_ZL15dequantize_q4_0PKvliR15HIP_vector_typeIfLj2EEEEfEvS1_PKiPT2_llS2_IjLj3EEmmmmmmmmm.num_named_barrier, 0
	.set _ZL10k_get_rowsILi32ELi2EXadL_ZL15dequantize_q4_0PKvliR15HIP_vector_typeIfLj2EEEEfEvS1_PKiPT2_llS2_IjLj3EEmmmmmmmmm.private_seg_size, 0
	.set _ZL10k_get_rowsILi32ELi2EXadL_ZL15dequantize_q4_0PKvliR15HIP_vector_typeIfLj2EEEEfEvS1_PKiPT2_llS2_IjLj3EEmmmmmmmmm.uses_vcc, 1
	.set _ZL10k_get_rowsILi32ELi2EXadL_ZL15dequantize_q4_0PKvliR15HIP_vector_typeIfLj2EEEEfEvS1_PKiPT2_llS2_IjLj3EEmmmmmmmmm.uses_flat_scratch, 0
	.set _ZL10k_get_rowsILi32ELi2EXadL_ZL15dequantize_q4_0PKvliR15HIP_vector_typeIfLj2EEEEfEvS1_PKiPT2_llS2_IjLj3EEmmmmmmmmm.has_dyn_sized_stack, 0
	.set _ZL10k_get_rowsILi32ELi2EXadL_ZL15dequantize_q4_0PKvliR15HIP_vector_typeIfLj2EEEEfEvS1_PKiPT2_llS2_IjLj3EEmmmmmmmmm.has_recursion, 0
	.set _ZL10k_get_rowsILi32ELi2EXadL_ZL15dequantize_q4_0PKvliR15HIP_vector_typeIfLj2EEEEfEvS1_PKiPT2_llS2_IjLj3EEmmmmmmmmm.has_indirect_call, 0
	.section	.AMDGPU.csdata,"",@progbits
; Kernel info:
; codeLenInByte = 728
; TotalNumSgprs: 56
; NumVgprs: 16
; ScratchSize: 0
; MemoryBound: 0
; FloatMode: 240
; IeeeMode: 1
; LDSByteSize: 0 bytes/workgroup (compile time only)
; SGPRBlocks: 0
; VGPRBlocks: 0
; NumSGPRsForWavesPerEU: 56
; NumVGPRsForWavesPerEU: 16
; NamedBarCnt: 0
; Occupancy: 16
; WaveLimiterHint : 1
; COMPUTE_PGM_RSRC2:SCRATCH_EN: 0
; COMPUTE_PGM_RSRC2:USER_SGPR: 2
; COMPUTE_PGM_RSRC2:TRAP_HANDLER: 0
; COMPUTE_PGM_RSRC2:TGID_X_EN: 1
; COMPUTE_PGM_RSRC2:TGID_Y_EN: 1
; COMPUTE_PGM_RSRC2:TGID_Z_EN: 1
; COMPUTE_PGM_RSRC2:TIDIG_COMP_CNT: 0
	.section	.text._ZL10k_get_rowsILi32ELi2EXadL_ZL15dequantize_q4_1PKvliR15HIP_vector_typeIfLj2EEEEfEvS1_PKiPT2_llS2_IjLj3EEmmmmmmmmm,"axG",@progbits,_ZL10k_get_rowsILi32ELi2EXadL_ZL15dequantize_q4_1PKvliR15HIP_vector_typeIfLj2EEEEfEvS1_PKiPT2_llS2_IjLj3EEmmmmmmmmm,comdat
	.globl	_ZL10k_get_rowsILi32ELi2EXadL_ZL15dequantize_q4_1PKvliR15HIP_vector_typeIfLj2EEEEfEvS1_PKiPT2_llS2_IjLj3EEmmmmmmmmm ; -- Begin function _ZL10k_get_rowsILi32ELi2EXadL_ZL15dequantize_q4_1PKvliR15HIP_vector_typeIfLj2EEEEfEvS1_PKiPT2_llS2_IjLj3EEmmmmmmmmm
	.p2align	8
	.type	_ZL10k_get_rowsILi32ELi2EXadL_ZL15dequantize_q4_1PKvliR15HIP_vector_typeIfLj2EEEEfEvS1_PKiPT2_llS2_IjLj3EEmmmmmmmmm,@function
_ZL10k_get_rowsILi32ELi2EXadL_ZL15dequantize_q4_1PKvliR15HIP_vector_typeIfLj2EEEEfEvS1_PKiPT2_llS2_IjLj3EEmmmmmmmmm: ; @_ZL10k_get_rowsILi32ELi2EXadL_ZL15dequantize_q4_1PKvliR15HIP_vector_typeIfLj2EEEEfEvS1_PKiPT2_llS2_IjLj3EEmmmmmmmmm
; %bb.0:
	s_clause 0x1
	s_load_b64 s[2:3], s[0:1], 0x2c
	s_load_b128 s[20:23], s[0:1], 0x18
	s_bfe_u32 s4, ttmp6, 0x40014
	s_lshr_b32 s6, ttmp7, 16
	s_add_co_i32 s4, s4, 1
	s_bfe_u32 s5, ttmp6, 0x40008
	s_mul_i32 s4, s6, s4
	s_mov_b32 s29, 0
	s_getreg_b32 s38, hwreg(HW_REG_IB_STS2, 6, 4)
	s_add_co_i32 s7, s5, s4
	s_cmp_eq_u32 s38, 0
	s_mov_b32 s5, s29
	s_cselect_b32 s28, s6, s7
	s_wait_kmcnt 0x0
	s_mov_b32 s4, s3
	s_delay_alu instid0(SALU_CYCLE_1) | instskip(NEXT) | instid1(SALU_CYCLE_1)
	s_mul_u64 s[22:23], s[22:23], s[4:5]
	v_cmp_le_i64_e64 s4, s[22:23], s[28:29]
	s_and_b32 vcc_lo, exec_lo, s4
	s_cbranch_vccnz .LBB6_6
; %bb.1:
	s_clause 0x5
	s_load_b64 s[30:31], s[0:1], 0x88
	s_load_b64 s[34:35], s[0:1], 0x78
	s_load_b128 s[24:27], s[0:1], 0x0
	s_load_b64 s[40:41], s[0:1], 0x10
	s_load_b32 s36, s[0:1], 0x28
	s_load_b512 s[4:19], s[0:1], 0x38
	s_bfe_u32 s39, ttmp6, 0x4000c
	s_bfe_u32 s43, ttmp6, 0x40010
	s_and_b32 s42, ttmp7, 0xffff
	s_add_co_i32 s39, s39, 1
	s_add_co_i32 s43, s43, 1
	s_and_b32 s33, ttmp6, 15
	s_bfe_u32 s44, ttmp6, 0x40004
	s_mul_i32 s39, ttmp9, s39
	s_mul_i32 s43, s42, s43
	s_add_co_i32 s39, s33, s39
	s_add_co_i32 s44, s44, s43
	v_mov_b32_e32 v1, 0
	s_mov_b32 s37, s29
	s_wait_kmcnt 0x0
	s_and_b32 s33, s31, 0xffff
	s_cmp_eq_u32 s38, 0
	s_cselect_b32 s31, s42, s44
	s_cselect_b32 s42, ttmp9, s39
	s_mul_i32 s31, s31, s33
	s_ashr_i32 s43, s42, 31
	v_add_lshl_u32 v0, s31, v0, 1
	s_add_nc_u64 s[38:39], s[0:1], 0x80
	s_mul_u64 s[0:1], s[16:17], s[42:43]
	s_mul_u64 s[16:17], s[4:5], s[42:43]
	s_lshl_b64 s[42:43], s[0:1], 2
	v_mov_b64_e32 v[2:3], v[0:1]
	v_cmp_gt_i64_e64 s0, s[20:21], v[0:1]
	v_lshlrev_b64_e32 v[4:5], 27, v[0:1]
	s_lshl_b64 s[44:45], s[16:17], 2
	s_mov_b64 s[4:5], 0xffffffff
	s_add_nc_u64 s[16:17], s[26:27], s[42:43]
	s_add_nc_u64 s[26:27], s[40:41], s[44:45]
	s_mov_b32 s31, s29
	s_mov_b64 s[40:41], s[28:29]
	s_branch .LBB6_3
.LBB6_2:                                ;   in Loop: Header=BB6_3 Depth=1
	s_or_b32 exec_lo, exec_lo, s1
	s_add_nc_u64 s[40:41], s[40:41], s[30:31]
	s_delay_alu instid0(SALU_CYCLE_1)
	v_cmp_ge_i64_e64 s1, s[40:41], s[22:23]
	s_and_b32 vcc_lo, exec_lo, s1
	s_cbranch_vccnz .LBB6_6
.LBB6_3:                                ; =>This Loop Header: Depth=1
                                        ;     Child Loop BB6_5 Depth 2
	s_and_saveexec_b32 s1, s0
	s_cbranch_execz .LBB6_2
; %bb.4:                                ;   in Loop: Header=BB6_3 Depth=1
	s_and_b64 s[42:43], s[40:41], s[4:5]
	v_mov_b64_e32 v[6:7], v[4:5]
	s_mul_u64 s[42:43], s[42:43], s[36:37]
	v_mov_b64_e32 v[8:9], v[2:3]
	s_add_co_i32 s28, s43, s40
	s_delay_alu instid0(SALU_CYCLE_1) | instskip(NEXT) | instid1(SALU_CYCLE_1)
	s_lshr_b32 s42, s28, s2
	s_mul_i32 s28, s42, s3
	s_ashr_i32 s43, s42, 31
	s_sub_co_i32 s44, s40, s28
	s_mul_u64 s[46:47], s[18:19], s[42:43]
	s_ashr_i32 s45, s44, 31
	s_lshl_b64 s[46:47], s[46:47], 2
	s_mul_u64 s[48:49], s[34:35], s[44:45]
	s_add_nc_u64 s[46:47], s[16:17], s[46:47]
	s_lshl_b64 s[48:49], s[48:49], 2
	s_mul_u64 s[50:51], s[12:13], s[42:43]
	s_add_nc_u64 s[46:47], s[46:47], s[48:49]
	s_mul_u64 s[52:53], s[14:15], s[44:45]
	s_load_b32 s48, s[46:47], 0x0
	s_load_b32 s28, s[38:39], 0x4
	s_wait_xcnt 0x0
	s_mul_u64 s[46:47], s[6:7], s[42:43]
	s_delay_alu instid0(SALU_CYCLE_1) | instskip(NEXT) | instid1(SALU_CYCLE_1)
	s_lshl_b64 s[46:47], s[46:47], 2
	s_add_nc_u64 s[42:43], s[26:27], s[46:47]
	s_mul_u64 s[46:47], s[8:9], s[44:45]
	s_delay_alu instid0(SALU_CYCLE_1) | instskip(NEXT) | instid1(SALU_CYCLE_1)
	s_lshl_b64 s[44:45], s[46:47], 2
	s_add_nc_u64 s[42:43], s[42:43], s[44:45]
	s_wait_kmcnt 0x0
	s_ashr_i32 s49, s48, 31
	s_mul_i32 s28, s28, s33
	s_mul_u64 s[46:47], s[10:11], s[48:49]
	s_mov_b32 s48, 0
	s_add_nc_u64 s[44:45], s[24:25], s[46:47]
	s_delay_alu instid0(SALU_CYCLE_1)
	s_add_nc_u64 s[46:47], s[44:45], s[50:51]
	s_lshl_b64 s[44:45], s[28:29], 27
	s_add_nc_u64 s[46:47], s[46:47], s[52:53]
.LBB6_5:                                ;   Parent Loop BB6_3 Depth=1
                                        ; =>  This Inner Loop Header: Depth=2
	s_delay_alu instid0(SALU_CYCLE_1) | instskip(SKIP_2) | instid1(VALU_DEP_2)
	v_mad_nc_i64_i32 v[10:11], v7, 20, s[46:47]
	v_bfe_u32 v0, v8, 1, 4
	v_add_nc_u64_e32 v[6:7], s[44:45], v[6:7]
	v_add_nc_u64_e32 v[12:13], v[10:11], v[0:1]
	v_and_or_b32 v0, 0xffffffe0, v8, v0
	v_add_nc_u64_e32 v[8:9], s[28:29], v[8:9]
	s_clause 0x1
	global_load_b32 v14, v[10:11], off
	global_load_u8 v15, v[12:13], off offset:4
	v_cmp_le_i64_e32 vcc_lo, s[20:21], v[8:9]
	s_or_b32 s48, vcc_lo, s48
	s_wait_loadcnt 0x0
	s_wait_xcnt 0x1
	v_dual_lshrrev_b32 v11, 4, v15 :: v_dual_bitop2_b32 v10, 15, v15 bitop3:0x40
	s_delay_alu instid0(VALU_DEP_1) | instskip(NEXT) | instid1(VALU_DEP_2)
	v_cvt_f32_ubyte0_e32 v10, v10
	v_cvt_f32_ubyte0_e32 v11, v11
	s_delay_alu instid0(VALU_DEP_2) | instskip(NEXT) | instid1(VALU_DEP_2)
	v_fma_mix_f32 v10, v14, v10, v14 op_sel:[0,0,1] op_sel_hi:[1,0,1]
	v_fma_mix_f32 v11, v14, v11, v14 op_sel:[0,0,1] op_sel_hi:[1,0,1]
	s_clause 0x1
	global_store_b32 v0, v10, s[42:43] scale_offset
	global_store_b32 v0, v11, s[42:43] offset:64 scale_offset
	s_wait_xcnt 0x0
	s_and_not1_b32 exec_lo, exec_lo, s48
	s_cbranch_execnz .LBB6_5
	s_branch .LBB6_2
.LBB6_6:
	s_endpgm
	.section	.rodata,"a",@progbits
	.p2align	6, 0x0
	.amdhsa_kernel _ZL10k_get_rowsILi32ELi2EXadL_ZL15dequantize_q4_1PKvliR15HIP_vector_typeIfLj2EEEEfEvS1_PKiPT2_llS2_IjLj3EEmmmmmmmmm
		.amdhsa_group_segment_fixed_size 0
		.amdhsa_private_segment_fixed_size 0
		.amdhsa_kernarg_size 384
		.amdhsa_user_sgpr_count 2
		.amdhsa_user_sgpr_dispatch_ptr 0
		.amdhsa_user_sgpr_queue_ptr 0
		.amdhsa_user_sgpr_kernarg_segment_ptr 1
		.amdhsa_user_sgpr_dispatch_id 0
		.amdhsa_user_sgpr_kernarg_preload_length 0
		.amdhsa_user_sgpr_kernarg_preload_offset 0
		.amdhsa_user_sgpr_private_segment_size 0
		.amdhsa_wavefront_size32 1
		.amdhsa_uses_dynamic_stack 0
		.amdhsa_enable_private_segment 0
		.amdhsa_system_sgpr_workgroup_id_x 1
		.amdhsa_system_sgpr_workgroup_id_y 1
		.amdhsa_system_sgpr_workgroup_id_z 1
		.amdhsa_system_sgpr_workgroup_info 0
		.amdhsa_system_vgpr_workitem_id 0
		.amdhsa_next_free_vgpr 16
		.amdhsa_next_free_sgpr 54
		.amdhsa_named_barrier_count 0
		.amdhsa_reserve_vcc 1
		.amdhsa_float_round_mode_32 0
		.amdhsa_float_round_mode_16_64 0
		.amdhsa_float_denorm_mode_32 3
		.amdhsa_float_denorm_mode_16_64 3
		.amdhsa_fp16_overflow 0
		.amdhsa_memory_ordered 1
		.amdhsa_forward_progress 1
		.amdhsa_inst_pref_size 6
		.amdhsa_round_robin_scheduling 0
		.amdhsa_exception_fp_ieee_invalid_op 0
		.amdhsa_exception_fp_denorm_src 0
		.amdhsa_exception_fp_ieee_div_zero 0
		.amdhsa_exception_fp_ieee_overflow 0
		.amdhsa_exception_fp_ieee_underflow 0
		.amdhsa_exception_fp_ieee_inexact 0
		.amdhsa_exception_int_div_zero 0
	.end_amdhsa_kernel
	.section	.text._ZL10k_get_rowsILi32ELi2EXadL_ZL15dequantize_q4_1PKvliR15HIP_vector_typeIfLj2EEEEfEvS1_PKiPT2_llS2_IjLj3EEmmmmmmmmm,"axG",@progbits,_ZL10k_get_rowsILi32ELi2EXadL_ZL15dequantize_q4_1PKvliR15HIP_vector_typeIfLj2EEEEfEvS1_PKiPT2_llS2_IjLj3EEmmmmmmmmm,comdat
.Lfunc_end6:
	.size	_ZL10k_get_rowsILi32ELi2EXadL_ZL15dequantize_q4_1PKvliR15HIP_vector_typeIfLj2EEEEfEvS1_PKiPT2_llS2_IjLj3EEmmmmmmmmm, .Lfunc_end6-_ZL10k_get_rowsILi32ELi2EXadL_ZL15dequantize_q4_1PKvliR15HIP_vector_typeIfLj2EEEEfEvS1_PKiPT2_llS2_IjLj3EEmmmmmmmmm
                                        ; -- End function
	.set _ZL10k_get_rowsILi32ELi2EXadL_ZL15dequantize_q4_1PKvliR15HIP_vector_typeIfLj2EEEEfEvS1_PKiPT2_llS2_IjLj3EEmmmmmmmmm.num_vgpr, 16
	.set _ZL10k_get_rowsILi32ELi2EXadL_ZL15dequantize_q4_1PKvliR15HIP_vector_typeIfLj2EEEEfEvS1_PKiPT2_llS2_IjLj3EEmmmmmmmmm.num_agpr, 0
	.set _ZL10k_get_rowsILi32ELi2EXadL_ZL15dequantize_q4_1PKvliR15HIP_vector_typeIfLj2EEEEfEvS1_PKiPT2_llS2_IjLj3EEmmmmmmmmm.numbered_sgpr, 54
	.set _ZL10k_get_rowsILi32ELi2EXadL_ZL15dequantize_q4_1PKvliR15HIP_vector_typeIfLj2EEEEfEvS1_PKiPT2_llS2_IjLj3EEmmmmmmmmm.num_named_barrier, 0
	.set _ZL10k_get_rowsILi32ELi2EXadL_ZL15dequantize_q4_1PKvliR15HIP_vector_typeIfLj2EEEEfEvS1_PKiPT2_llS2_IjLj3EEmmmmmmmmm.private_seg_size, 0
	.set _ZL10k_get_rowsILi32ELi2EXadL_ZL15dequantize_q4_1PKvliR15HIP_vector_typeIfLj2EEEEfEvS1_PKiPT2_llS2_IjLj3EEmmmmmmmmm.uses_vcc, 1
	.set _ZL10k_get_rowsILi32ELi2EXadL_ZL15dequantize_q4_1PKvliR15HIP_vector_typeIfLj2EEEEfEvS1_PKiPT2_llS2_IjLj3EEmmmmmmmmm.uses_flat_scratch, 0
	.set _ZL10k_get_rowsILi32ELi2EXadL_ZL15dequantize_q4_1PKvliR15HIP_vector_typeIfLj2EEEEfEvS1_PKiPT2_llS2_IjLj3EEmmmmmmmmm.has_dyn_sized_stack, 0
	.set _ZL10k_get_rowsILi32ELi2EXadL_ZL15dequantize_q4_1PKvliR15HIP_vector_typeIfLj2EEEEfEvS1_PKiPT2_llS2_IjLj3EEmmmmmmmmm.has_recursion, 0
	.set _ZL10k_get_rowsILi32ELi2EXadL_ZL15dequantize_q4_1PKvliR15HIP_vector_typeIfLj2EEEEfEvS1_PKiPT2_llS2_IjLj3EEmmmmmmmmm.has_indirect_call, 0
	.section	.AMDGPU.csdata,"",@progbits
; Kernel info:
; codeLenInByte = 716
; TotalNumSgprs: 56
; NumVgprs: 16
; ScratchSize: 0
; MemoryBound: 0
; FloatMode: 240
; IeeeMode: 1
; LDSByteSize: 0 bytes/workgroup (compile time only)
; SGPRBlocks: 0
; VGPRBlocks: 0
; NumSGPRsForWavesPerEU: 56
; NumVGPRsForWavesPerEU: 16
; NamedBarCnt: 0
; Occupancy: 16
; WaveLimiterHint : 1
; COMPUTE_PGM_RSRC2:SCRATCH_EN: 0
; COMPUTE_PGM_RSRC2:USER_SGPR: 2
; COMPUTE_PGM_RSRC2:TRAP_HANDLER: 0
; COMPUTE_PGM_RSRC2:TGID_X_EN: 1
; COMPUTE_PGM_RSRC2:TGID_Y_EN: 1
; COMPUTE_PGM_RSRC2:TGID_Z_EN: 1
; COMPUTE_PGM_RSRC2:TIDIG_COMP_CNT: 0
	.section	.text._ZL10k_get_rowsILi32ELi2EXadL_ZL15dequantize_q5_0PKvliR15HIP_vector_typeIfLj2EEEEfEvS1_PKiPT2_llS2_IjLj3EEmmmmmmmmm,"axG",@progbits,_ZL10k_get_rowsILi32ELi2EXadL_ZL15dequantize_q5_0PKvliR15HIP_vector_typeIfLj2EEEEfEvS1_PKiPT2_llS2_IjLj3EEmmmmmmmmm,comdat
	.globl	_ZL10k_get_rowsILi32ELi2EXadL_ZL15dequantize_q5_0PKvliR15HIP_vector_typeIfLj2EEEEfEvS1_PKiPT2_llS2_IjLj3EEmmmmmmmmm ; -- Begin function _ZL10k_get_rowsILi32ELi2EXadL_ZL15dequantize_q5_0PKvliR15HIP_vector_typeIfLj2EEEEfEvS1_PKiPT2_llS2_IjLj3EEmmmmmmmmm
	.p2align	8
	.type	_ZL10k_get_rowsILi32ELi2EXadL_ZL15dequantize_q5_0PKvliR15HIP_vector_typeIfLj2EEEEfEvS1_PKiPT2_llS2_IjLj3EEmmmmmmmmm,@function
_ZL10k_get_rowsILi32ELi2EXadL_ZL15dequantize_q5_0PKvliR15HIP_vector_typeIfLj2EEEEfEvS1_PKiPT2_llS2_IjLj3EEmmmmmmmmm: ; @_ZL10k_get_rowsILi32ELi2EXadL_ZL15dequantize_q5_0PKvliR15HIP_vector_typeIfLj2EEEEfEvS1_PKiPT2_llS2_IjLj3EEmmmmmmmmm
; %bb.0:
	s_clause 0x1
	s_load_b64 s[2:3], s[0:1], 0x2c
	s_load_b128 s[20:23], s[0:1], 0x18
	s_bfe_u32 s4, ttmp6, 0x40014
	s_lshr_b32 s6, ttmp7, 16
	s_add_co_i32 s4, s4, 1
	s_bfe_u32 s5, ttmp6, 0x40008
	s_mul_i32 s4, s6, s4
	s_mov_b32 s29, 0
	s_getreg_b32 s38, hwreg(HW_REG_IB_STS2, 6, 4)
	s_add_co_i32 s7, s5, s4
	s_cmp_eq_u32 s38, 0
	s_mov_b32 s5, s29
	s_cselect_b32 s28, s6, s7
	s_wait_kmcnt 0x0
	s_mov_b32 s4, s3
	s_delay_alu instid0(SALU_CYCLE_1) | instskip(NEXT) | instid1(SALU_CYCLE_1)
	s_mul_u64 s[22:23], s[22:23], s[4:5]
	v_cmp_le_i64_e64 s4, s[22:23], s[28:29]
	s_and_b32 vcc_lo, exec_lo, s4
	s_cbranch_vccnz .LBB7_6
; %bb.1:
	s_clause 0x5
	s_load_b64 s[30:31], s[0:1], 0x88
	s_load_b64 s[34:35], s[0:1], 0x78
	s_load_b128 s[24:27], s[0:1], 0x0
	s_load_b64 s[40:41], s[0:1], 0x10
	s_load_b32 s36, s[0:1], 0x28
	s_load_b512 s[4:19], s[0:1], 0x38
	s_bfe_u32 s39, ttmp6, 0x4000c
	s_bfe_u32 s43, ttmp6, 0x40010
	s_and_b32 s42, ttmp7, 0xffff
	s_add_co_i32 s39, s39, 1
	s_add_co_i32 s43, s43, 1
	s_and_b32 s33, ttmp6, 15
	s_bfe_u32 s44, ttmp6, 0x40004
	s_mul_i32 s39, ttmp9, s39
	s_mul_i32 s43, s42, s43
	s_add_co_i32 s39, s33, s39
	s_add_co_i32 s44, s44, s43
	v_mov_b32_e32 v1, 0
	s_mov_b32 s37, s29
	s_wait_kmcnt 0x0
	s_and_b32 s33, s31, 0xffff
	s_cmp_eq_u32 s38, 0
	s_cselect_b32 s31, s42, s44
	s_cselect_b32 s42, ttmp9, s39
	s_mul_i32 s31, s31, s33
	s_ashr_i32 s43, s42, 31
	v_add_lshl_u32 v0, s31, v0, 1
	s_add_nc_u64 s[38:39], s[0:1], 0x80
	s_mul_u64 s[0:1], s[16:17], s[42:43]
	s_mul_u64 s[16:17], s[4:5], s[42:43]
	s_lshl_b64 s[42:43], s[0:1], 2
	v_mov_b64_e32 v[2:3], v[0:1]
	v_cmp_gt_i64_e64 s0, s[20:21], v[0:1]
	v_lshlrev_b64_e32 v[4:5], 27, v[0:1]
	s_lshl_b64 s[44:45], s[16:17], 2
	s_mov_b64 s[4:5], 0xffffffff
	s_add_nc_u64 s[16:17], s[26:27], s[42:43]
	s_add_nc_u64 s[26:27], s[40:41], s[44:45]
	s_mov_b32 s31, s29
	s_mov_b64 s[40:41], s[28:29]
	s_branch .LBB7_3
.LBB7_2:                                ;   in Loop: Header=BB7_3 Depth=1
	s_or_b32 exec_lo, exec_lo, s1
	s_add_nc_u64 s[40:41], s[40:41], s[30:31]
	s_delay_alu instid0(SALU_CYCLE_1)
	v_cmp_ge_i64_e64 s1, s[40:41], s[22:23]
	s_and_b32 vcc_lo, exec_lo, s1
	s_cbranch_vccnz .LBB7_6
.LBB7_3:                                ; =>This Loop Header: Depth=1
                                        ;     Child Loop BB7_5 Depth 2
	s_and_saveexec_b32 s1, s0
	s_cbranch_execz .LBB7_2
; %bb.4:                                ;   in Loop: Header=BB7_3 Depth=1
	s_and_b64 s[42:43], s[40:41], s[4:5]
	v_mov_b64_e32 v[6:7], v[4:5]
	s_mul_u64 s[42:43], s[42:43], s[36:37]
	v_mov_b64_e32 v[8:9], v[2:3]
	s_add_co_i32 s28, s43, s40
	s_delay_alu instid0(SALU_CYCLE_1) | instskip(NEXT) | instid1(SALU_CYCLE_1)
	s_lshr_b32 s42, s28, s2
	s_mul_i32 s28, s42, s3
	s_ashr_i32 s43, s42, 31
	s_sub_co_i32 s44, s40, s28
	s_mul_u64 s[46:47], s[18:19], s[42:43]
	s_ashr_i32 s45, s44, 31
	s_lshl_b64 s[46:47], s[46:47], 2
	s_mul_u64 s[48:49], s[34:35], s[44:45]
	s_add_nc_u64 s[46:47], s[16:17], s[46:47]
	s_lshl_b64 s[48:49], s[48:49], 2
	s_mul_u64 s[50:51], s[12:13], s[42:43]
	s_add_nc_u64 s[46:47], s[46:47], s[48:49]
	s_mul_u64 s[52:53], s[14:15], s[44:45]
	s_load_b32 s48, s[46:47], 0x0
	s_load_b32 s28, s[38:39], 0x4
	s_wait_xcnt 0x0
	s_mul_u64 s[46:47], s[6:7], s[42:43]
	s_delay_alu instid0(SALU_CYCLE_1) | instskip(NEXT) | instid1(SALU_CYCLE_1)
	s_lshl_b64 s[46:47], s[46:47], 2
	s_add_nc_u64 s[42:43], s[26:27], s[46:47]
	s_mul_u64 s[46:47], s[8:9], s[44:45]
	s_delay_alu instid0(SALU_CYCLE_1) | instskip(NEXT) | instid1(SALU_CYCLE_1)
	s_lshl_b64 s[44:45], s[46:47], 2
	s_add_nc_u64 s[42:43], s[42:43], s[44:45]
	s_wait_kmcnt 0x0
	s_ashr_i32 s49, s48, 31
	s_mul_i32 s28, s28, s33
	s_mul_u64 s[46:47], s[10:11], s[48:49]
	s_mov_b32 s48, 0
	s_add_nc_u64 s[44:45], s[24:25], s[46:47]
	s_delay_alu instid0(SALU_CYCLE_1)
	s_add_nc_u64 s[46:47], s[44:45], s[50:51]
	s_lshl_b64 s[44:45], s[28:29], 27
	s_add_nc_u64 s[46:47], s[46:47], s[52:53]
.LBB7_5:                                ;   Parent Loop BB7_3 Depth=1
                                        ; =>  This Inner Loop Header: Depth=2
	s_delay_alu instid0(SALU_CYCLE_1) | instskip(SKIP_2) | instid1(VALU_DEP_2)
	v_mad_nc_i64_i32 v[10:11], v7, 22, s[46:47]
	v_bfe_u32 v0, v8, 1, 4
	v_add_nc_u64_e32 v[6:7], s[44:45], v[6:7]
	v_add_nc_u64_e32 v[12:13], v[10:11], v[0:1]
	s_clause 0x2
	global_load_b32 v14, v[10:11], off
	global_load_u16 v15, v[10:11], off offset:4
	global_load_u8 v16, v[12:13], off offset:6
	s_wait_loadcnt 0x1
	s_wait_xcnt 0x1
	v_perm_b32 v10, v14, v15, 0x1000706
	v_add_nc_u32_e32 v11, 12, v0
	s_wait_loadcnt 0x0
	s_wait_xcnt 0x0
	v_lshrrev_b16 v13, 4, v16
	s_delay_alu instid0(VALU_DEP_2) | instskip(SKIP_2) | instid1(VALU_DEP_3)
	v_dual_lshrrev_b32 v12, v0, v10 :: v_dual_lshrrev_b32 v10, v11, v10
	v_and_or_b32 v0, 0xffffffe0, v8, v0
	v_add_nc_u64_e32 v[8:9], s[28:29], v[8:9]
	v_dual_lshlrev_b32 v11, 4, v12 :: v_dual_bitop2_b32 v10, 16, v10 bitop3:0x40
	s_delay_alu instid0(VALU_DEP_2) | instskip(NEXT) | instid1(VALU_DEP_2)
	v_cmp_le_i64_e32 vcc_lo, s[20:21], v[8:9]
	v_and_b32_e32 v11, 16, v11
	v_or_b32_e32 v12, -16, v13
	v_or_b32_e32 v13, -16, v16
	s_or_b32 s48, vcc_lo, s48
	s_delay_alu instid0(VALU_DEP_1) | instskip(NEXT) | instid1(VALU_DEP_3)
	v_add_nc_u32_e32 v11, v13, v11
	v_bfe_i32 v12, v12, 0, 16
	s_delay_alu instid0(VALU_DEP_2) | instskip(NEXT) | instid1(VALU_DEP_2)
	v_cvt_f32_i32_e32 v11, v11
	v_add_nc_u32_e32 v10, v10, v12
	v_cvt_f32_f16_e32 v12, v14
	s_delay_alu instid0(VALU_DEP_2) | instskip(NEXT) | instid1(VALU_DEP_1)
	v_cvt_f32_i32_e32 v10, v10
	v_dual_mul_f32 v11, v12, v11 :: v_dual_mul_f32 v10, v12, v10
	s_clause 0x1
	global_store_b32 v0, v11, s[42:43] scale_offset
	global_store_b32 v0, v10, s[42:43] offset:64 scale_offset
	s_wait_xcnt 0x0
	s_and_not1_b32 exec_lo, exec_lo, s48
	s_cbranch_execnz .LBB7_5
	s_branch .LBB7_2
.LBB7_6:
	s_endpgm
	.section	.rodata,"a",@progbits
	.p2align	6, 0x0
	.amdhsa_kernel _ZL10k_get_rowsILi32ELi2EXadL_ZL15dequantize_q5_0PKvliR15HIP_vector_typeIfLj2EEEEfEvS1_PKiPT2_llS2_IjLj3EEmmmmmmmmm
		.amdhsa_group_segment_fixed_size 0
		.amdhsa_private_segment_fixed_size 0
		.amdhsa_kernarg_size 384
		.amdhsa_user_sgpr_count 2
		.amdhsa_user_sgpr_dispatch_ptr 0
		.amdhsa_user_sgpr_queue_ptr 0
		.amdhsa_user_sgpr_kernarg_segment_ptr 1
		.amdhsa_user_sgpr_dispatch_id 0
		.amdhsa_user_sgpr_kernarg_preload_length 0
		.amdhsa_user_sgpr_kernarg_preload_offset 0
		.amdhsa_user_sgpr_private_segment_size 0
		.amdhsa_wavefront_size32 1
		.amdhsa_uses_dynamic_stack 0
		.amdhsa_enable_private_segment 0
		.amdhsa_system_sgpr_workgroup_id_x 1
		.amdhsa_system_sgpr_workgroup_id_y 1
		.amdhsa_system_sgpr_workgroup_id_z 1
		.amdhsa_system_sgpr_workgroup_info 0
		.amdhsa_system_vgpr_workitem_id 0
		.amdhsa_next_free_vgpr 17
		.amdhsa_next_free_sgpr 54
		.amdhsa_named_barrier_count 0
		.amdhsa_reserve_vcc 1
		.amdhsa_float_round_mode_32 0
		.amdhsa_float_round_mode_16_64 0
		.amdhsa_float_denorm_mode_32 3
		.amdhsa_float_denorm_mode_16_64 3
		.amdhsa_fp16_overflow 0
		.amdhsa_memory_ordered 1
		.amdhsa_forward_progress 1
		.amdhsa_inst_pref_size 7
		.amdhsa_round_robin_scheduling 0
		.amdhsa_exception_fp_ieee_invalid_op 0
		.amdhsa_exception_fp_denorm_src 0
		.amdhsa_exception_fp_ieee_div_zero 0
		.amdhsa_exception_fp_ieee_overflow 0
		.amdhsa_exception_fp_ieee_underflow 0
		.amdhsa_exception_fp_ieee_inexact 0
		.amdhsa_exception_int_div_zero 0
	.end_amdhsa_kernel
	.section	.text._ZL10k_get_rowsILi32ELi2EXadL_ZL15dequantize_q5_0PKvliR15HIP_vector_typeIfLj2EEEEfEvS1_PKiPT2_llS2_IjLj3EEmmmmmmmmm,"axG",@progbits,_ZL10k_get_rowsILi32ELi2EXadL_ZL15dequantize_q5_0PKvliR15HIP_vector_typeIfLj2EEEEfEvS1_PKiPT2_llS2_IjLj3EEmmmmmmmmm,comdat
.Lfunc_end7:
	.size	_ZL10k_get_rowsILi32ELi2EXadL_ZL15dequantize_q5_0PKvliR15HIP_vector_typeIfLj2EEEEfEvS1_PKiPT2_llS2_IjLj3EEmmmmmmmmm, .Lfunc_end7-_ZL10k_get_rowsILi32ELi2EXadL_ZL15dequantize_q5_0PKvliR15HIP_vector_typeIfLj2EEEEfEvS1_PKiPT2_llS2_IjLj3EEmmmmmmmmm
                                        ; -- End function
	.set _ZL10k_get_rowsILi32ELi2EXadL_ZL15dequantize_q5_0PKvliR15HIP_vector_typeIfLj2EEEEfEvS1_PKiPT2_llS2_IjLj3EEmmmmmmmmm.num_vgpr, 17
	.set _ZL10k_get_rowsILi32ELi2EXadL_ZL15dequantize_q5_0PKvliR15HIP_vector_typeIfLj2EEEEfEvS1_PKiPT2_llS2_IjLj3EEmmmmmmmmm.num_agpr, 0
	.set _ZL10k_get_rowsILi32ELi2EXadL_ZL15dequantize_q5_0PKvliR15HIP_vector_typeIfLj2EEEEfEvS1_PKiPT2_llS2_IjLj3EEmmmmmmmmm.numbered_sgpr, 54
	.set _ZL10k_get_rowsILi32ELi2EXadL_ZL15dequantize_q5_0PKvliR15HIP_vector_typeIfLj2EEEEfEvS1_PKiPT2_llS2_IjLj3EEmmmmmmmmm.num_named_barrier, 0
	.set _ZL10k_get_rowsILi32ELi2EXadL_ZL15dequantize_q5_0PKvliR15HIP_vector_typeIfLj2EEEEfEvS1_PKiPT2_llS2_IjLj3EEmmmmmmmmm.private_seg_size, 0
	.set _ZL10k_get_rowsILi32ELi2EXadL_ZL15dequantize_q5_0PKvliR15HIP_vector_typeIfLj2EEEEfEvS1_PKiPT2_llS2_IjLj3EEmmmmmmmmm.uses_vcc, 1
	.set _ZL10k_get_rowsILi32ELi2EXadL_ZL15dequantize_q5_0PKvliR15HIP_vector_typeIfLj2EEEEfEvS1_PKiPT2_llS2_IjLj3EEmmmmmmmmm.uses_flat_scratch, 0
	.set _ZL10k_get_rowsILi32ELi2EXadL_ZL15dequantize_q5_0PKvliR15HIP_vector_typeIfLj2EEEEfEvS1_PKiPT2_llS2_IjLj3EEmmmmmmmmm.has_dyn_sized_stack, 0
	.set _ZL10k_get_rowsILi32ELi2EXadL_ZL15dequantize_q5_0PKvliR15HIP_vector_typeIfLj2EEEEfEvS1_PKiPT2_llS2_IjLj3EEmmmmmmmmm.has_recursion, 0
	.set _ZL10k_get_rowsILi32ELi2EXadL_ZL15dequantize_q5_0PKvliR15HIP_vector_typeIfLj2EEEEfEvS1_PKiPT2_llS2_IjLj3EEmmmmmmmmm.has_indirect_call, 0
	.section	.AMDGPU.csdata,"",@progbits
; Kernel info:
; codeLenInByte = 808
; TotalNumSgprs: 56
; NumVgprs: 17
; ScratchSize: 0
; MemoryBound: 0
; FloatMode: 240
; IeeeMode: 1
; LDSByteSize: 0 bytes/workgroup (compile time only)
; SGPRBlocks: 0
; VGPRBlocks: 1
; NumSGPRsForWavesPerEU: 56
; NumVGPRsForWavesPerEU: 17
; NamedBarCnt: 0
; Occupancy: 16
; WaveLimiterHint : 1
; COMPUTE_PGM_RSRC2:SCRATCH_EN: 0
; COMPUTE_PGM_RSRC2:USER_SGPR: 2
; COMPUTE_PGM_RSRC2:TRAP_HANDLER: 0
; COMPUTE_PGM_RSRC2:TGID_X_EN: 1
; COMPUTE_PGM_RSRC2:TGID_Y_EN: 1
; COMPUTE_PGM_RSRC2:TGID_Z_EN: 1
; COMPUTE_PGM_RSRC2:TIDIG_COMP_CNT: 0
	.section	.text._ZL10k_get_rowsILi32ELi2EXadL_ZL15dequantize_q5_1PKvliR15HIP_vector_typeIfLj2EEEEfEvS1_PKiPT2_llS2_IjLj3EEmmmmmmmmm,"axG",@progbits,_ZL10k_get_rowsILi32ELi2EXadL_ZL15dequantize_q5_1PKvliR15HIP_vector_typeIfLj2EEEEfEvS1_PKiPT2_llS2_IjLj3EEmmmmmmmmm,comdat
	.globl	_ZL10k_get_rowsILi32ELi2EXadL_ZL15dequantize_q5_1PKvliR15HIP_vector_typeIfLj2EEEEfEvS1_PKiPT2_llS2_IjLj3EEmmmmmmmmm ; -- Begin function _ZL10k_get_rowsILi32ELi2EXadL_ZL15dequantize_q5_1PKvliR15HIP_vector_typeIfLj2EEEEfEvS1_PKiPT2_llS2_IjLj3EEmmmmmmmmm
	.p2align	8
	.type	_ZL10k_get_rowsILi32ELi2EXadL_ZL15dequantize_q5_1PKvliR15HIP_vector_typeIfLj2EEEEfEvS1_PKiPT2_llS2_IjLj3EEmmmmmmmmm,@function
_ZL10k_get_rowsILi32ELi2EXadL_ZL15dequantize_q5_1PKvliR15HIP_vector_typeIfLj2EEEEfEvS1_PKiPT2_llS2_IjLj3EEmmmmmmmmm: ; @_ZL10k_get_rowsILi32ELi2EXadL_ZL15dequantize_q5_1PKvliR15HIP_vector_typeIfLj2EEEEfEvS1_PKiPT2_llS2_IjLj3EEmmmmmmmmm
; %bb.0:
	s_clause 0x1
	s_load_b64 s[2:3], s[0:1], 0x2c
	s_load_b128 s[20:23], s[0:1], 0x18
	s_bfe_u32 s4, ttmp6, 0x40014
	s_lshr_b32 s6, ttmp7, 16
	s_add_co_i32 s4, s4, 1
	s_bfe_u32 s5, ttmp6, 0x40008
	s_mul_i32 s4, s6, s4
	s_mov_b32 s29, 0
	s_getreg_b32 s38, hwreg(HW_REG_IB_STS2, 6, 4)
	s_add_co_i32 s7, s5, s4
	s_cmp_eq_u32 s38, 0
	s_mov_b32 s5, s29
	s_cselect_b32 s28, s6, s7
	s_wait_kmcnt 0x0
	s_mov_b32 s4, s3
	s_delay_alu instid0(SALU_CYCLE_1) | instskip(NEXT) | instid1(SALU_CYCLE_1)
	s_mul_u64 s[22:23], s[22:23], s[4:5]
	v_cmp_le_i64_e64 s4, s[22:23], s[28:29]
	s_and_b32 vcc_lo, exec_lo, s4
	s_cbranch_vccnz .LBB8_6
; %bb.1:
	s_clause 0x5
	s_load_b64 s[30:31], s[0:1], 0x88
	s_load_b64 s[34:35], s[0:1], 0x78
	s_load_b128 s[24:27], s[0:1], 0x0
	s_load_b64 s[40:41], s[0:1], 0x10
	s_load_b32 s36, s[0:1], 0x28
	s_load_b512 s[4:19], s[0:1], 0x38
	s_bfe_u32 s39, ttmp6, 0x4000c
	s_bfe_u32 s43, ttmp6, 0x40010
	s_and_b32 s42, ttmp7, 0xffff
	s_add_co_i32 s39, s39, 1
	s_add_co_i32 s43, s43, 1
	s_and_b32 s33, ttmp6, 15
	s_bfe_u32 s44, ttmp6, 0x40004
	s_mul_i32 s39, ttmp9, s39
	s_mul_i32 s43, s42, s43
	s_add_co_i32 s39, s33, s39
	s_add_co_i32 s44, s44, s43
	v_mov_b32_e32 v1, 0
	s_mov_b32 s37, s29
	s_wait_kmcnt 0x0
	s_and_b32 s33, s31, 0xffff
	s_cmp_eq_u32 s38, 0
	s_cselect_b32 s31, s42, s44
	s_cselect_b32 s42, ttmp9, s39
	s_mul_i32 s31, s31, s33
	s_ashr_i32 s43, s42, 31
	v_add_lshl_u32 v0, s31, v0, 1
	s_add_nc_u64 s[38:39], s[0:1], 0x80
	s_mul_u64 s[0:1], s[16:17], s[42:43]
	s_mul_u64 s[16:17], s[4:5], s[42:43]
	s_lshl_b64 s[42:43], s[0:1], 2
	v_mov_b64_e32 v[2:3], v[0:1]
	v_cmp_gt_i64_e64 s0, s[20:21], v[0:1]
	v_lshlrev_b64_e32 v[4:5], 27, v[0:1]
	s_lshl_b64 s[44:45], s[16:17], 2
	s_mov_b64 s[4:5], 0xffffffff
	s_add_nc_u64 s[16:17], s[26:27], s[42:43]
	s_add_nc_u64 s[26:27], s[40:41], s[44:45]
	s_mov_b32 s31, s29
	s_mov_b64 s[40:41], s[28:29]
	s_branch .LBB8_3
.LBB8_2:                                ;   in Loop: Header=BB8_3 Depth=1
	s_or_b32 exec_lo, exec_lo, s1
	s_add_nc_u64 s[40:41], s[40:41], s[30:31]
	s_delay_alu instid0(SALU_CYCLE_1)
	v_cmp_ge_i64_e64 s1, s[40:41], s[22:23]
	s_and_b32 vcc_lo, exec_lo, s1
	s_cbranch_vccnz .LBB8_6
.LBB8_3:                                ; =>This Loop Header: Depth=1
                                        ;     Child Loop BB8_5 Depth 2
	s_and_saveexec_b32 s1, s0
	s_cbranch_execz .LBB8_2
; %bb.4:                                ;   in Loop: Header=BB8_3 Depth=1
	s_and_b64 s[42:43], s[40:41], s[4:5]
	v_mov_b64_e32 v[6:7], v[4:5]
	s_mul_u64 s[42:43], s[42:43], s[36:37]
	v_mov_b64_e32 v[8:9], v[2:3]
	s_add_co_i32 s28, s43, s40
	s_delay_alu instid0(SALU_CYCLE_1) | instskip(NEXT) | instid1(SALU_CYCLE_1)
	s_lshr_b32 s42, s28, s2
	s_mul_i32 s28, s42, s3
	s_ashr_i32 s43, s42, 31
	s_sub_co_i32 s44, s40, s28
	s_mul_u64 s[46:47], s[18:19], s[42:43]
	s_ashr_i32 s45, s44, 31
	s_lshl_b64 s[46:47], s[46:47], 2
	s_mul_u64 s[48:49], s[34:35], s[44:45]
	s_add_nc_u64 s[46:47], s[16:17], s[46:47]
	s_lshl_b64 s[48:49], s[48:49], 2
	s_mul_u64 s[50:51], s[12:13], s[42:43]
	s_add_nc_u64 s[46:47], s[46:47], s[48:49]
	s_mul_u64 s[52:53], s[14:15], s[44:45]
	s_load_b32 s48, s[46:47], 0x0
	s_load_b32 s28, s[38:39], 0x4
	s_wait_xcnt 0x0
	s_mul_u64 s[46:47], s[6:7], s[42:43]
	s_delay_alu instid0(SALU_CYCLE_1) | instskip(NEXT) | instid1(SALU_CYCLE_1)
	s_lshl_b64 s[46:47], s[46:47], 2
	s_add_nc_u64 s[42:43], s[26:27], s[46:47]
	s_mul_u64 s[46:47], s[8:9], s[44:45]
	s_delay_alu instid0(SALU_CYCLE_1) | instskip(NEXT) | instid1(SALU_CYCLE_1)
	s_lshl_b64 s[44:45], s[46:47], 2
	s_add_nc_u64 s[42:43], s[42:43], s[44:45]
	s_wait_kmcnt 0x0
	s_ashr_i32 s49, s48, 31
	s_mul_i32 s28, s28, s33
	s_mul_u64 s[46:47], s[10:11], s[48:49]
	s_mov_b32 s48, 0
	s_add_nc_u64 s[44:45], s[24:25], s[46:47]
	s_delay_alu instid0(SALU_CYCLE_1)
	s_add_nc_u64 s[46:47], s[44:45], s[50:51]
	s_lshl_b64 s[44:45], s[28:29], 27
	s_add_nc_u64 s[46:47], s[46:47], s[52:53]
.LBB8_5:                                ;   Parent Loop BB8_3 Depth=1
                                        ; =>  This Inner Loop Header: Depth=2
	s_delay_alu instid0(SALU_CYCLE_1) | instskip(SKIP_2) | instid1(VALU_DEP_2)
	v_mad_nc_i64_i32 v[10:11], v7, 24, s[46:47]
	v_bfe_u32 v0, v8, 1, 4
	v_add_nc_u64_e32 v[6:7], s[44:45], v[6:7]
	v_add_nc_u64_e32 v[12:13], v[10:11], v[0:1]
	s_clause 0x1
	global_load_b64 v[14:15], v[10:11], off
	global_load_u8 v16, v[12:13], off offset:8
	s_wait_loadcnt 0x1
	s_wait_xcnt 0x1
	v_dual_add_nc_u32 v10, 12, v0 :: v_dual_lshrrev_b32 v11, v0, v15
	s_wait_loadcnt 0x0
	s_wait_xcnt 0x0
	s_delay_alu instid0(VALU_DEP_1) | instskip(SKIP_4) | instid1(VALU_DEP_4)
	v_dual_lshrrev_b32 v10, v10, v15 :: v_dual_bitop2_b32 v12, 15, v16 bitop3:0x40
	v_lshrrev_b16 v13, 4, v16
	v_and_or_b32 v0, 0xffffffe0, v8, v0
	v_lshlrev_b32_e32 v11, 4, v11
	v_add_nc_u64_e32 v[8:9], s[28:29], v[8:9]
	v_and_or_b32 v10, v10, 16, v13
	s_delay_alu instid0(VALU_DEP_3) | instskip(NEXT) | instid1(VALU_DEP_2)
	v_and_or_b32 v11, v11, 16, v12
	v_cvt_f32_ubyte0_e32 v10, v10
	s_delay_alu instid0(VALU_DEP_4) | instskip(NEXT) | instid1(VALU_DEP_3)
	v_cmp_le_i64_e32 vcc_lo, s[20:21], v[8:9]
	v_cvt_f32_ubyte0_e32 v11, v11
	s_delay_alu instid0(VALU_DEP_3) | instskip(NEXT) | instid1(VALU_DEP_2)
	v_fma_mix_f32 v10, v14, v10, v14 op_sel:[0,0,1] op_sel_hi:[1,0,1]
	v_fma_mix_f32 v11, v14, v11, v14 op_sel:[0,0,1] op_sel_hi:[1,0,1]
	s_or_b32 s48, vcc_lo, s48
	s_clause 0x1
	global_store_b32 v0, v11, s[42:43] scale_offset
	global_store_b32 v0, v10, s[42:43] offset:64 scale_offset
	s_wait_xcnt 0x0
	s_and_not1_b32 exec_lo, exec_lo, s48
	s_cbranch_execnz .LBB8_5
	s_branch .LBB8_2
.LBB8_6:
	s_endpgm
	.section	.rodata,"a",@progbits
	.p2align	6, 0x0
	.amdhsa_kernel _ZL10k_get_rowsILi32ELi2EXadL_ZL15dequantize_q5_1PKvliR15HIP_vector_typeIfLj2EEEEfEvS1_PKiPT2_llS2_IjLj3EEmmmmmmmmm
		.amdhsa_group_segment_fixed_size 0
		.amdhsa_private_segment_fixed_size 0
		.amdhsa_kernarg_size 384
		.amdhsa_user_sgpr_count 2
		.amdhsa_user_sgpr_dispatch_ptr 0
		.amdhsa_user_sgpr_queue_ptr 0
		.amdhsa_user_sgpr_kernarg_segment_ptr 1
		.amdhsa_user_sgpr_dispatch_id 0
		.amdhsa_user_sgpr_kernarg_preload_length 0
		.amdhsa_user_sgpr_kernarg_preload_offset 0
		.amdhsa_user_sgpr_private_segment_size 0
		.amdhsa_wavefront_size32 1
		.amdhsa_uses_dynamic_stack 0
		.amdhsa_enable_private_segment 0
		.amdhsa_system_sgpr_workgroup_id_x 1
		.amdhsa_system_sgpr_workgroup_id_y 1
		.amdhsa_system_sgpr_workgroup_id_z 1
		.amdhsa_system_sgpr_workgroup_info 0
		.amdhsa_system_vgpr_workitem_id 0
		.amdhsa_next_free_vgpr 17
		.amdhsa_next_free_sgpr 54
		.amdhsa_named_barrier_count 0
		.amdhsa_reserve_vcc 1
		.amdhsa_float_round_mode_32 0
		.amdhsa_float_round_mode_16_64 0
		.amdhsa_float_denorm_mode_32 3
		.amdhsa_float_denorm_mode_16_64 3
		.amdhsa_fp16_overflow 0
		.amdhsa_memory_ordered 1
		.amdhsa_forward_progress 1
		.amdhsa_inst_pref_size 7
		.amdhsa_round_robin_scheduling 0
		.amdhsa_exception_fp_ieee_invalid_op 0
		.amdhsa_exception_fp_denorm_src 0
		.amdhsa_exception_fp_ieee_div_zero 0
		.amdhsa_exception_fp_ieee_overflow 0
		.amdhsa_exception_fp_ieee_underflow 0
		.amdhsa_exception_fp_ieee_inexact 0
		.amdhsa_exception_int_div_zero 0
	.end_amdhsa_kernel
	.section	.text._ZL10k_get_rowsILi32ELi2EXadL_ZL15dequantize_q5_1PKvliR15HIP_vector_typeIfLj2EEEEfEvS1_PKiPT2_llS2_IjLj3EEmmmmmmmmm,"axG",@progbits,_ZL10k_get_rowsILi32ELi2EXadL_ZL15dequantize_q5_1PKvliR15HIP_vector_typeIfLj2EEEEfEvS1_PKiPT2_llS2_IjLj3EEmmmmmmmmm,comdat
.Lfunc_end8:
	.size	_ZL10k_get_rowsILi32ELi2EXadL_ZL15dequantize_q5_1PKvliR15HIP_vector_typeIfLj2EEEEfEvS1_PKiPT2_llS2_IjLj3EEmmmmmmmmm, .Lfunc_end8-_ZL10k_get_rowsILi32ELi2EXadL_ZL15dequantize_q5_1PKvliR15HIP_vector_typeIfLj2EEEEfEvS1_PKiPT2_llS2_IjLj3EEmmmmmmmmm
                                        ; -- End function
	.set _ZL10k_get_rowsILi32ELi2EXadL_ZL15dequantize_q5_1PKvliR15HIP_vector_typeIfLj2EEEEfEvS1_PKiPT2_llS2_IjLj3EEmmmmmmmmm.num_vgpr, 17
	.set _ZL10k_get_rowsILi32ELi2EXadL_ZL15dequantize_q5_1PKvliR15HIP_vector_typeIfLj2EEEEfEvS1_PKiPT2_llS2_IjLj3EEmmmmmmmmm.num_agpr, 0
	.set _ZL10k_get_rowsILi32ELi2EXadL_ZL15dequantize_q5_1PKvliR15HIP_vector_typeIfLj2EEEEfEvS1_PKiPT2_llS2_IjLj3EEmmmmmmmmm.numbered_sgpr, 54
	.set _ZL10k_get_rowsILi32ELi2EXadL_ZL15dequantize_q5_1PKvliR15HIP_vector_typeIfLj2EEEEfEvS1_PKiPT2_llS2_IjLj3EEmmmmmmmmm.num_named_barrier, 0
	.set _ZL10k_get_rowsILi32ELi2EXadL_ZL15dequantize_q5_1PKvliR15HIP_vector_typeIfLj2EEEEfEvS1_PKiPT2_llS2_IjLj3EEmmmmmmmmm.private_seg_size, 0
	.set _ZL10k_get_rowsILi32ELi2EXadL_ZL15dequantize_q5_1PKvliR15HIP_vector_typeIfLj2EEEEfEvS1_PKiPT2_llS2_IjLj3EEmmmmmmmmm.uses_vcc, 1
	.set _ZL10k_get_rowsILi32ELi2EXadL_ZL15dequantize_q5_1PKvliR15HIP_vector_typeIfLj2EEEEfEvS1_PKiPT2_llS2_IjLj3EEmmmmmmmmm.uses_flat_scratch, 0
	.set _ZL10k_get_rowsILi32ELi2EXadL_ZL15dequantize_q5_1PKvliR15HIP_vector_typeIfLj2EEEEfEvS1_PKiPT2_llS2_IjLj3EEmmmmmmmmm.has_dyn_sized_stack, 0
	.set _ZL10k_get_rowsILi32ELi2EXadL_ZL15dequantize_q5_1PKvliR15HIP_vector_typeIfLj2EEEEfEvS1_PKiPT2_llS2_IjLj3EEmmmmmmmmm.has_recursion, 0
	.set _ZL10k_get_rowsILi32ELi2EXadL_ZL15dequantize_q5_1PKvliR15HIP_vector_typeIfLj2EEEEfEvS1_PKiPT2_llS2_IjLj3EEmmmmmmmmm.has_indirect_call, 0
	.section	.AMDGPU.csdata,"",@progbits
; Kernel info:
; codeLenInByte = 772
; TotalNumSgprs: 56
; NumVgprs: 17
; ScratchSize: 0
; MemoryBound: 0
; FloatMode: 240
; IeeeMode: 1
; LDSByteSize: 0 bytes/workgroup (compile time only)
; SGPRBlocks: 0
; VGPRBlocks: 1
; NumSGPRsForWavesPerEU: 56
; NumVGPRsForWavesPerEU: 17
; NamedBarCnt: 0
; Occupancy: 16
; WaveLimiterHint : 1
; COMPUTE_PGM_RSRC2:SCRATCH_EN: 0
; COMPUTE_PGM_RSRC2:USER_SGPR: 2
; COMPUTE_PGM_RSRC2:TRAP_HANDLER: 0
; COMPUTE_PGM_RSRC2:TGID_X_EN: 1
; COMPUTE_PGM_RSRC2:TGID_Y_EN: 1
; COMPUTE_PGM_RSRC2:TGID_Z_EN: 1
; COMPUTE_PGM_RSRC2:TIDIG_COMP_CNT: 0
	.section	.text._ZL10k_get_rowsILi32ELi1EXadL_ZL15dequantize_q8_0PKvliR15HIP_vector_typeIfLj2EEEEfEvS1_PKiPT2_llS2_IjLj3EEmmmmmmmmm,"axG",@progbits,_ZL10k_get_rowsILi32ELi1EXadL_ZL15dequantize_q8_0PKvliR15HIP_vector_typeIfLj2EEEEfEvS1_PKiPT2_llS2_IjLj3EEmmmmmmmmm,comdat
	.globl	_ZL10k_get_rowsILi32ELi1EXadL_ZL15dequantize_q8_0PKvliR15HIP_vector_typeIfLj2EEEEfEvS1_PKiPT2_llS2_IjLj3EEmmmmmmmmm ; -- Begin function _ZL10k_get_rowsILi32ELi1EXadL_ZL15dequantize_q8_0PKvliR15HIP_vector_typeIfLj2EEEEfEvS1_PKiPT2_llS2_IjLj3EEmmmmmmmmm
	.p2align	8
	.type	_ZL10k_get_rowsILi32ELi1EXadL_ZL15dequantize_q8_0PKvliR15HIP_vector_typeIfLj2EEEEfEvS1_PKiPT2_llS2_IjLj3EEmmmmmmmmm,@function
_ZL10k_get_rowsILi32ELi1EXadL_ZL15dequantize_q8_0PKvliR15HIP_vector_typeIfLj2EEEEfEvS1_PKiPT2_llS2_IjLj3EEmmmmmmmmm: ; @_ZL10k_get_rowsILi32ELi1EXadL_ZL15dequantize_q8_0PKvliR15HIP_vector_typeIfLj2EEEEfEvS1_PKiPT2_llS2_IjLj3EEmmmmmmmmm
; %bb.0:
	s_clause 0x1
	s_load_b64 s[2:3], s[0:1], 0x2c
	s_load_b128 s[20:23], s[0:1], 0x18
	s_bfe_u32 s4, ttmp6, 0x40014
	s_lshr_b32 s6, ttmp7, 16
	s_add_co_i32 s4, s4, 1
	s_bfe_u32 s5, ttmp6, 0x40008
	s_mul_i32 s4, s6, s4
	s_mov_b32 s29, 0
	s_getreg_b32 s38, hwreg(HW_REG_IB_STS2, 6, 4)
	s_add_co_i32 s7, s5, s4
	s_cmp_eq_u32 s38, 0
	s_mov_b32 s5, s29
	s_cselect_b32 s28, s6, s7
	s_wait_kmcnt 0x0
	s_mov_b32 s4, s3
	s_delay_alu instid0(SALU_CYCLE_1) | instskip(NEXT) | instid1(SALU_CYCLE_1)
	s_mul_u64 s[22:23], s[22:23], s[4:5]
	v_cmp_le_i64_e64 s4, s[22:23], s[28:29]
	s_and_b32 vcc_lo, exec_lo, s4
	s_cbranch_vccnz .LBB9_6
; %bb.1:
	s_clause 0x5
	s_load_b64 s[30:31], s[0:1], 0x88
	s_load_b64 s[34:35], s[0:1], 0x78
	s_load_b128 s[24:27], s[0:1], 0x0
	s_load_b64 s[40:41], s[0:1], 0x10
	s_load_b32 s36, s[0:1], 0x28
	s_load_b512 s[4:19], s[0:1], 0x38
	s_bfe_u32 s39, ttmp6, 0x4000c
	s_bfe_u32 s43, ttmp6, 0x40010
	s_and_b32 s42, ttmp7, 0xffff
	s_add_co_i32 s39, s39, 1
	s_add_co_i32 s43, s43, 1
	s_and_b32 s33, ttmp6, 15
	s_bfe_u32 s44, ttmp6, 0x40004
	s_mul_i32 s39, ttmp9, s39
	s_mul_i32 s43, s42, s43
	s_add_co_i32 s39, s33, s39
	s_add_co_i32 s44, s44, s43
	s_mov_b32 s37, s29
	s_wait_kmcnt 0x0
	s_and_b32 s33, s31, 0xffff
	s_cmp_eq_u32 s38, 0
	s_cselect_b32 s31, s42, s44
	s_cselect_b32 s38, ttmp9, s39
	s_mul_i32 s31, s31, s33
	s_ashr_i32 s39, s38, 31
	v_add_lshl_u32 v0, s31, v0, 1
	v_mov_b32_e32 v1, 0
	s_mul_u64 s[42:43], s[16:17], s[38:39]
	s_add_nc_u64 s[16:17], s[0:1], 0x80
	s_lshl_b64 s[0:1], s[42:43], 2
	s_mul_u64 s[38:39], s[4:5], s[38:39]
	s_add_nc_u64 s[4:5], s[26:27], s[0:1]
	v_mov_b32_e32 v7, v0
	v_mov_b64_e32 v[2:3], v[0:1]
	v_cmp_gt_i64_e64 s0, s[20:21], v[0:1]
	v_lshlrev_b64_e32 v[4:5], 27, v[0:1]
	v_mov_b32_e32 v6, v1
	s_lshl_b64 s[38:39], s[38:39], 2
	s_mov_b64 s[26:27], 0xffffffff
	s_add_nc_u64 s[38:39], s[40:41], s[38:39]
	s_mov_b32 s31, s29
	s_mov_b64 s[40:41], s[28:29]
	s_branch .LBB9_3
.LBB9_2:                                ;   in Loop: Header=BB9_3 Depth=1
	s_or_b32 exec_lo, exec_lo, s1
	s_add_nc_u64 s[40:41], s[40:41], s[30:31]
	s_delay_alu instid0(SALU_CYCLE_1)
	v_cmp_ge_i64_e64 s1, s[40:41], s[22:23]
	s_and_b32 vcc_lo, exec_lo, s1
	s_cbranch_vccnz .LBB9_6
.LBB9_3:                                ; =>This Loop Header: Depth=1
                                        ;     Child Loop BB9_5 Depth 2
	s_and_saveexec_b32 s1, s0
	s_cbranch_execz .LBB9_2
; %bb.4:                                ;   in Loop: Header=BB9_3 Depth=1
	s_and_b64 s[42:43], s[40:41], s[26:27]
	v_mov_b64_e32 v[8:9], v[6:7]
	s_mul_u64 s[42:43], s[42:43], s[36:37]
	v_mov_b64_e32 v[10:11], v[4:5]
	s_add_co_i32 s28, s43, s40
	v_mov_b64_e32 v[12:13], v[2:3]
	s_lshr_b32 s44, s28, s2
	s_delay_alu instid0(SALU_CYCLE_1)
	s_mul_i32 s28, s44, s3
	s_ashr_i32 s45, s44, 31
	s_sub_co_i32 s46, s40, s28
	s_mul_u64 s[42:43], s[18:19], s[44:45]
	s_ashr_i32 s47, s46, 31
	s_lshl_b64 s[42:43], s[42:43], 2
	s_mul_u64 s[48:49], s[34:35], s[46:47]
	s_add_nc_u64 s[42:43], s[4:5], s[42:43]
	s_lshl_b64 s[48:49], s[48:49], 2
	s_mul_u64 s[50:51], s[6:7], s[44:45]
	s_add_nc_u64 s[42:43], s[42:43], s[48:49]
	s_lshl_b64 s[50:51], s[50:51], 2
	s_load_b32 s48, s[42:43], 0x0
	s_load_b32 s28, s[16:17], 0x4
	s_mul_u64 s[52:53], s[12:13], s[44:45]
	s_add_nc_u64 s[44:45], s[38:39], s[50:51]
	s_mul_u64 s[50:51], s[8:9], s[46:47]
	s_mul_u64 s[54:55], s[14:15], s[46:47]
	s_lshl_b64 s[46:47], s[50:51], 2
	s_wait_xcnt 0x0
	s_mov_b32 s42, 0
	s_add_nc_u64 s[44:45], s[44:45], s[46:47]
	s_mov_b32 s50, s42
	s_wait_kmcnt 0x0
	s_ashr_i32 s49, s48, 31
	s_mul_i32 s28, s28, s33
	s_mul_u64 s[46:47], s[10:11], s[48:49]
	s_mov_b32 s43, s28
	s_add_nc_u64 s[48:49], s[24:25], s[46:47]
	s_lshl_b64 s[46:47], s[28:29], 27
	s_add_nc_u64 s[48:49], s[48:49], s[52:53]
	s_delay_alu instid0(SALU_CYCLE_1)
	s_add_nc_u64 s[48:49], s[48:49], s[54:55]
.LBB9_5:                                ;   Parent Loop BB9_3 Depth=1
                                        ; =>  This Inner Loop Header: Depth=2
	s_delay_alu instid0(SALU_CYCLE_1) | instskip(SKIP_3) | instid1(VALU_DEP_2)
	v_mad_nc_i64_i32 v[14:15], v11, 34, s[48:49]
	v_and_b32_e32 v0, 31, v12
	v_add_nc_u64_e32 v[12:13], s[28:29], v[12:13]
	v_add_nc_u64_e32 v[10:11], s[46:47], v[10:11]
	v_cmp_le_i64_e32 vcc_lo, s[20:21], v[12:13]
	s_delay_alu instid0(VALU_DEP_4)
	v_add_nc_u64_e32 v[16:17], v[14:15], v[0:1]
	s_clause 0x1
	global_load_u16 v0, v[14:15], off
	global_load_u16 v18, v[16:17], off offset:2
	s_or_b32 s50, vcc_lo, s50
	s_wait_loadcnt 0x1
	v_cvt_f32_f16_e32 v0, v0
	s_wait_loadcnt 0x0
	s_wait_xcnt 0x1
	v_ashrrev_i16 v14, 8, v18
	v_bfe_i32 v15, v18, 0, 8
	s_wait_xcnt 0x0
	s_delay_alu instid0(VALU_DEP_2) | instskip(NEXT) | instid1(VALU_DEP_2)
	v_bfe_i32 v16, v14, 0, 16
	v_bfe_i32 v18, v15, 0, 16
	v_ashrrev_i64 v[14:15], 30, v[8:9]
	v_add_nc_u64_e32 v[8:9], s[42:43], v[8:9]
	s_delay_alu instid0(VALU_DEP_4) | instskip(NEXT) | instid1(VALU_DEP_4)
	v_cvt_f32_i32_e32 v17, v16
	v_cvt_f32_i32_e32 v16, v18
	s_delay_alu instid0(VALU_DEP_4) | instskip(NEXT) | instid1(VALU_DEP_2)
	v_add_nc_u64_e32 v[14:15], s[44:45], v[14:15]
	v_pk_mul_f32 v[16:17], v[0:1], v[16:17] op_sel_hi:[0,1]
	global_store_b64 v[14:15], v[16:17], off
	s_wait_xcnt 0x0
	s_and_not1_b32 exec_lo, exec_lo, s50
	s_cbranch_execnz .LBB9_5
	s_branch .LBB9_2
.LBB9_6:
	s_endpgm
	.section	.rodata,"a",@progbits
	.p2align	6, 0x0
	.amdhsa_kernel _ZL10k_get_rowsILi32ELi1EXadL_ZL15dequantize_q8_0PKvliR15HIP_vector_typeIfLj2EEEEfEvS1_PKiPT2_llS2_IjLj3EEmmmmmmmmm
		.amdhsa_group_segment_fixed_size 0
		.amdhsa_private_segment_fixed_size 0
		.amdhsa_kernarg_size 384
		.amdhsa_user_sgpr_count 2
		.amdhsa_user_sgpr_dispatch_ptr 0
		.amdhsa_user_sgpr_queue_ptr 0
		.amdhsa_user_sgpr_kernarg_segment_ptr 1
		.amdhsa_user_sgpr_dispatch_id 0
		.amdhsa_user_sgpr_kernarg_preload_length 0
		.amdhsa_user_sgpr_kernarg_preload_offset 0
		.amdhsa_user_sgpr_private_segment_size 0
		.amdhsa_wavefront_size32 1
		.amdhsa_uses_dynamic_stack 0
		.amdhsa_enable_private_segment 0
		.amdhsa_system_sgpr_workgroup_id_x 1
		.amdhsa_system_sgpr_workgroup_id_y 1
		.amdhsa_system_sgpr_workgroup_id_z 1
		.amdhsa_system_sgpr_workgroup_info 0
		.amdhsa_system_vgpr_workitem_id 0
		.amdhsa_next_free_vgpr 19
		.amdhsa_next_free_sgpr 56
		.amdhsa_named_barrier_count 0
		.amdhsa_reserve_vcc 1
		.amdhsa_float_round_mode_32 0
		.amdhsa_float_round_mode_16_64 0
		.amdhsa_float_denorm_mode_32 3
		.amdhsa_float_denorm_mode_16_64 3
		.amdhsa_fp16_overflow 0
		.amdhsa_memory_ordered 1
		.amdhsa_forward_progress 1
		.amdhsa_inst_pref_size 6
		.amdhsa_round_robin_scheduling 0
		.amdhsa_exception_fp_ieee_invalid_op 0
		.amdhsa_exception_fp_denorm_src 0
		.amdhsa_exception_fp_ieee_div_zero 0
		.amdhsa_exception_fp_ieee_overflow 0
		.amdhsa_exception_fp_ieee_underflow 0
		.amdhsa_exception_fp_ieee_inexact 0
		.amdhsa_exception_int_div_zero 0
	.end_amdhsa_kernel
	.section	.text._ZL10k_get_rowsILi32ELi1EXadL_ZL15dequantize_q8_0PKvliR15HIP_vector_typeIfLj2EEEEfEvS1_PKiPT2_llS2_IjLj3EEmmmmmmmmm,"axG",@progbits,_ZL10k_get_rowsILi32ELi1EXadL_ZL15dequantize_q8_0PKvliR15HIP_vector_typeIfLj2EEEEfEvS1_PKiPT2_llS2_IjLj3EEmmmmmmmmm,comdat
.Lfunc_end9:
	.size	_ZL10k_get_rowsILi32ELi1EXadL_ZL15dequantize_q8_0PKvliR15HIP_vector_typeIfLj2EEEEfEvS1_PKiPT2_llS2_IjLj3EEmmmmmmmmm, .Lfunc_end9-_ZL10k_get_rowsILi32ELi1EXadL_ZL15dequantize_q8_0PKvliR15HIP_vector_typeIfLj2EEEEfEvS1_PKiPT2_llS2_IjLj3EEmmmmmmmmm
                                        ; -- End function
	.set _ZL10k_get_rowsILi32ELi1EXadL_ZL15dequantize_q8_0PKvliR15HIP_vector_typeIfLj2EEEEfEvS1_PKiPT2_llS2_IjLj3EEmmmmmmmmm.num_vgpr, 19
	.set _ZL10k_get_rowsILi32ELi1EXadL_ZL15dequantize_q8_0PKvliR15HIP_vector_typeIfLj2EEEEfEvS1_PKiPT2_llS2_IjLj3EEmmmmmmmmm.num_agpr, 0
	.set _ZL10k_get_rowsILi32ELi1EXadL_ZL15dequantize_q8_0PKvliR15HIP_vector_typeIfLj2EEEEfEvS1_PKiPT2_llS2_IjLj3EEmmmmmmmmm.numbered_sgpr, 56
	.set _ZL10k_get_rowsILi32ELi1EXadL_ZL15dequantize_q8_0PKvliR15HIP_vector_typeIfLj2EEEEfEvS1_PKiPT2_llS2_IjLj3EEmmmmmmmmm.num_named_barrier, 0
	.set _ZL10k_get_rowsILi32ELi1EXadL_ZL15dequantize_q8_0PKvliR15HIP_vector_typeIfLj2EEEEfEvS1_PKiPT2_llS2_IjLj3EEmmmmmmmmm.private_seg_size, 0
	.set _ZL10k_get_rowsILi32ELi1EXadL_ZL15dequantize_q8_0PKvliR15HIP_vector_typeIfLj2EEEEfEvS1_PKiPT2_llS2_IjLj3EEmmmmmmmmm.uses_vcc, 1
	.set _ZL10k_get_rowsILi32ELi1EXadL_ZL15dequantize_q8_0PKvliR15HIP_vector_typeIfLj2EEEEfEvS1_PKiPT2_llS2_IjLj3EEmmmmmmmmm.uses_flat_scratch, 0
	.set _ZL10k_get_rowsILi32ELi1EXadL_ZL15dequantize_q8_0PKvliR15HIP_vector_typeIfLj2EEEEfEvS1_PKiPT2_llS2_IjLj3EEmmmmmmmmm.has_dyn_sized_stack, 0
	.set _ZL10k_get_rowsILi32ELi1EXadL_ZL15dequantize_q8_0PKvliR15HIP_vector_typeIfLj2EEEEfEvS1_PKiPT2_llS2_IjLj3EEmmmmmmmmm.has_recursion, 0
	.set _ZL10k_get_rowsILi32ELi1EXadL_ZL15dequantize_q8_0PKvliR15HIP_vector_typeIfLj2EEEEfEvS1_PKiPT2_llS2_IjLj3EEmmmmmmmmm.has_indirect_call, 0
	.section	.AMDGPU.csdata,"",@progbits
; Kernel info:
; codeLenInByte = 744
; TotalNumSgprs: 58
; NumVgprs: 19
; ScratchSize: 0
; MemoryBound: 0
; FloatMode: 240
; IeeeMode: 1
; LDSByteSize: 0 bytes/workgroup (compile time only)
; SGPRBlocks: 0
; VGPRBlocks: 1
; NumSGPRsForWavesPerEU: 58
; NumVGPRsForWavesPerEU: 19
; NamedBarCnt: 0
; Occupancy: 16
; WaveLimiterHint : 1
; COMPUTE_PGM_RSRC2:SCRATCH_EN: 0
; COMPUTE_PGM_RSRC2:USER_SGPR: 2
; COMPUTE_PGM_RSRC2:TRAP_HANDLER: 0
; COMPUTE_PGM_RSRC2:TGID_X_EN: 1
; COMPUTE_PGM_RSRC2:TGID_Y_EN: 1
; COMPUTE_PGM_RSRC2:TGID_Z_EN: 1
; COMPUTE_PGM_RSRC2:TIDIG_COMP_CNT: 0
	.section	.text._ZL16k_get_rows_floatI6__halfiEvPKT_PKiPT0_ll15HIP_vector_typeIjLj3EEmmmmmmmmm,"axG",@progbits,_ZL16k_get_rows_floatI6__halfiEvPKT_PKiPT0_ll15HIP_vector_typeIjLj3EEmmmmmmmmm,comdat
	.globl	_ZL16k_get_rows_floatI6__halfiEvPKT_PKiPT0_ll15HIP_vector_typeIjLj3EEmmmmmmmmm ; -- Begin function _ZL16k_get_rows_floatI6__halfiEvPKT_PKiPT0_ll15HIP_vector_typeIjLj3EEmmmmmmmmm
	.p2align	8
	.type	_ZL16k_get_rows_floatI6__halfiEvPKT_PKiPT0_ll15HIP_vector_typeIjLj3EEmmmmmmmmm,@function
_ZL16k_get_rows_floatI6__halfiEvPKT_PKiPT0_ll15HIP_vector_typeIjLj3EEmmmmmmmmm: ; @_ZL16k_get_rows_floatI6__halfiEvPKT_PKiPT0_ll15HIP_vector_typeIjLj3EEmmmmmmmmm
; %bb.0:
	s_clause 0x1
	s_load_b64 s[2:3], s[0:1], 0x2c
	s_load_b64 s[4:5], s[0:1], 0x20
	s_bfe_u32 s6, ttmp6, 0x40014
	s_lshr_b32 s8, ttmp7, 16
	s_add_co_i32 s6, s6, 1
	s_bfe_u32 s7, ttmp6, 0x40008
	s_mul_i32 s6, s8, s6
	s_mov_b32 s29, 0
	s_getreg_b32 s39, hwreg(HW_REG_IB_STS2, 6, 4)
	s_add_co_i32 s9, s7, s6
	s_cmp_eq_u32 s39, 0
	s_mov_b32 s7, s29
	s_cselect_b32 s28, s8, s9
	s_wait_kmcnt 0x0
	s_mov_b32 s6, s3
	s_delay_alu instid0(SALU_CYCLE_1) | instskip(NEXT) | instid1(SALU_CYCLE_1)
	s_mul_u64 s[30:31], s[4:5], s[6:7]
	v_cmp_le_i64_e64 s4, s[30:31], s[28:29]
	s_and_b32 vcc_lo, exec_lo, s4
	s_cbranch_vccnz .LBB10_6
; %bb.1:
	s_clause 0x4
	s_load_b64 s[34:35], s[0:1], 0x88
	s_load_b64 s[36:37], s[0:1], 0x78
	s_load_b256 s[20:27], s[0:1], 0x0
	s_load_b32 s38, s[0:1], 0x28
	s_load_b512 s[4:19], s[0:1], 0x38
	s_bfe_u32 s40, ttmp6, 0x4000c
	s_bfe_u32 s42, ttmp6, 0x40010
	s_and_b32 s41, ttmp7, 0xffff
	s_add_co_i32 s40, s40, 1
	s_add_co_i32 s42, s42, 1
	s_and_b32 s33, ttmp6, 15
	s_bfe_u32 s43, ttmp6, 0x40004
	s_mul_i32 s40, ttmp9, s40
	s_mul_i32 s42, s41, s42
	s_add_co_i32 s44, s33, s40
	s_add_co_i32 s43, s43, s42
	v_mov_b32_e32 v1, 0
	s_wait_kmcnt 0x0
	s_and_b32 s33, s35, 0xffff
	s_cmp_eq_u32 s39, 0
	s_mov_b32 s39, s29
	s_cselect_b32 s35, s41, s43
	s_add_nc_u64 s[40:41], s[0:1], 0x80
	v_mad_u32 v0, s35, s33, v0
	s_cselect_b32 s0, ttmp9, s44
	s_mov_b32 s35, s29
	s_ashr_i32 s1, s0, 31
	s_lshl_b64 s[6:7], s[6:7], 2
	s_mul_u64 s[16:17], s[16:17], s[0:1]
	s_mul_u64 s[0:1], s[4:5], s[0:1]
	s_lshl_b64 s[4:5], s[16:17], 2
	s_lshl_b64 s[0:1], s[0:1], 2
	s_add_nc_u64 s[4:5], s[22:23], s[4:5]
	s_add_nc_u64 s[22:23], s[24:25], s[0:1]
	v_cmp_gt_i64_e64 s0, s[26:27], v[0:1]
	v_lshl_add_u64 v[2:3], v[0:1], 2, s[22:23]
	v_lshl_add_u64 v[4:5], v[0:1], 1, s[20:21]
	s_mov_b64 s[16:17], 0xffffffff
	s_lshl_b64 s[8:9], s[8:9], 2
	s_mov_b64 s[20:21], s[28:29]
	s_branch .LBB10_3
.LBB10_2:                               ;   in Loop: Header=BB10_3 Depth=1
	s_or_b32 exec_lo, exec_lo, s1
	s_add_nc_u64 s[20:21], s[20:21], s[34:35]
	s_delay_alu instid0(SALU_CYCLE_1)
	v_cmp_lt_i64_e64 s1, s[20:21], s[30:31]
	s_and_b32 vcc_lo, exec_lo, s1
	s_cbranch_vccz .LBB10_6
.LBB10_3:                               ; =>This Loop Header: Depth=1
                                        ;     Child Loop BB10_5 Depth 2
	s_and_saveexec_b32 s1, s0
	s_cbranch_execz .LBB10_2
; %bb.4:                                ;   in Loop: Header=BB10_3 Depth=1
	s_and_b64 s[22:23], s[20:21], s[16:17]
	s_load_b32 s28, s[40:41], 0x4
	s_mul_u64 s[22:23], s[22:23], s[38:39]
	v_mov_b64_e32 v[10:11], v[0:1]
	s_add_co_i32 s22, s23, s20
	s_delay_alu instid0(SALU_CYCLE_1) | instskip(NEXT) | instid1(SALU_CYCLE_1)
	s_lshr_b32 s22, s22, s2
	s_mul_i32 s24, s22, s3
	s_ashr_i32 s23, s22, 31
	s_sub_co_i32 s24, s20, s24
	s_mul_u64 s[42:43], s[18:19], s[22:23]
	s_ashr_i32 s25, s24, 31
	s_mul_u64 s[44:45], s[12:13], s[22:23]
	s_mul_u64 s[46:47], s[6:7], s[22:23]
	s_lshl_b64 s[22:23], s[42:43], 2
	s_mul_u64 s[42:43], s[36:37], s[24:25]
	s_add_nc_u64 s[22:23], s[4:5], s[22:23]
	s_mul_u64 s[48:49], s[8:9], s[24:25]
	s_lshl_b64 s[42:43], s[42:43], 2
	s_mul_u64 s[24:25], s[14:15], s[24:25]
	s_add_nc_u64 s[22:23], s[22:23], s[42:43]
	s_add_nc_u64 s[42:43], s[46:47], s[48:49]
	;; [unrolled: 1-line block ×3, first 2 shown]
	v_add_nc_u64_e32 v[6:7], s[42:43], v[2:3]
	v_add_nc_u64_e32 v[8:9], s[24:25], v[4:5]
	s_wait_kmcnt 0x0
	s_mul_i32 s28, s28, s33
	s_mov_b32 s44, 0
	s_lshl_b64 s[24:25], s[28:29], 2
	s_lshl_b64 s[42:43], s[28:29], 1
.LBB10_5:                               ;   Parent Loop BB10_3 Depth=1
                                        ; =>  This Inner Loop Header: Depth=2
	global_load_b32 v12, v1, s[22:23]
	v_add_nc_u64_e32 v[10:11], s[28:29], v[10:11]
	s_delay_alu instid0(VALU_DEP_1)
	v_cmp_le_i64_e32 vcc_lo, s[26:27], v[10:11]
	s_or_b32 s44, vcc_lo, s44
	s_wait_loadcnt 0x0
	v_ashrrev_i32_e32 v14, 31, v12
	v_mul_lo_u32 v15, s11, v12
	v_mad_nc_u64_u32 v[12:13], s10, v12, v[8:9]
	v_add_nc_u64_e32 v[8:9], s[42:43], v[8:9]
	s_delay_alu instid0(VALU_DEP_4) | instskip(NEXT) | instid1(VALU_DEP_1)
	v_mul_lo_u32 v14, s10, v14
	v_add3_u32 v13, v14, v15, v13
	global_load_u16 v12, v[12:13], off
	s_wait_loadcnt 0x0
	s_wait_xcnt 0x0
	v_cvt_f32_f16_e32 v12, v12
	s_delay_alu instid0(VALU_DEP_1)
	v_cvt_i32_f32_e32 v12, v12
	global_store_b32 v[6:7], v12, off
	s_wait_xcnt 0x0
	v_add_nc_u64_e32 v[6:7], s[24:25], v[6:7]
	s_and_not1_b32 exec_lo, exec_lo, s44
	s_cbranch_execnz .LBB10_5
	s_branch .LBB10_2
.LBB10_6:
	s_endpgm
	.section	.rodata,"a",@progbits
	.p2align	6, 0x0
	.amdhsa_kernel _ZL16k_get_rows_floatI6__halfiEvPKT_PKiPT0_ll15HIP_vector_typeIjLj3EEmmmmmmmmm
		.amdhsa_group_segment_fixed_size 0
		.amdhsa_private_segment_fixed_size 0
		.amdhsa_kernarg_size 384
		.amdhsa_user_sgpr_count 2
		.amdhsa_user_sgpr_dispatch_ptr 0
		.amdhsa_user_sgpr_queue_ptr 0
		.amdhsa_user_sgpr_kernarg_segment_ptr 1
		.amdhsa_user_sgpr_dispatch_id 0
		.amdhsa_user_sgpr_kernarg_preload_length 0
		.amdhsa_user_sgpr_kernarg_preload_offset 0
		.amdhsa_user_sgpr_private_segment_size 0
		.amdhsa_wavefront_size32 1
		.amdhsa_uses_dynamic_stack 0
		.amdhsa_enable_private_segment 0
		.amdhsa_system_sgpr_workgroup_id_x 1
		.amdhsa_system_sgpr_workgroup_id_y 1
		.amdhsa_system_sgpr_workgroup_id_z 1
		.amdhsa_system_sgpr_workgroup_info 0
		.amdhsa_system_vgpr_workitem_id 0
		.amdhsa_next_free_vgpr 16
		.amdhsa_next_free_sgpr 50
		.amdhsa_named_barrier_count 0
		.amdhsa_reserve_vcc 1
		.amdhsa_float_round_mode_32 0
		.amdhsa_float_round_mode_16_64 0
		.amdhsa_float_denorm_mode_32 3
		.amdhsa_float_denorm_mode_16_64 3
		.amdhsa_fp16_overflow 0
		.amdhsa_memory_ordered 1
		.amdhsa_forward_progress 1
		.amdhsa_inst_pref_size 5
		.amdhsa_round_robin_scheduling 0
		.amdhsa_exception_fp_ieee_invalid_op 0
		.amdhsa_exception_fp_denorm_src 0
		.amdhsa_exception_fp_ieee_div_zero 0
		.amdhsa_exception_fp_ieee_overflow 0
		.amdhsa_exception_fp_ieee_underflow 0
		.amdhsa_exception_fp_ieee_inexact 0
		.amdhsa_exception_int_div_zero 0
	.end_amdhsa_kernel
	.section	.text._ZL16k_get_rows_floatI6__halfiEvPKT_PKiPT0_ll15HIP_vector_typeIjLj3EEmmmmmmmmm,"axG",@progbits,_ZL16k_get_rows_floatI6__halfiEvPKT_PKiPT0_ll15HIP_vector_typeIjLj3EEmmmmmmmmm,comdat
.Lfunc_end10:
	.size	_ZL16k_get_rows_floatI6__halfiEvPKT_PKiPT0_ll15HIP_vector_typeIjLj3EEmmmmmmmmm, .Lfunc_end10-_ZL16k_get_rows_floatI6__halfiEvPKT_PKiPT0_ll15HIP_vector_typeIjLj3EEmmmmmmmmm
                                        ; -- End function
	.set _ZL16k_get_rows_floatI6__halfiEvPKT_PKiPT0_ll15HIP_vector_typeIjLj3EEmmmmmmmmm.num_vgpr, 16
	.set _ZL16k_get_rows_floatI6__halfiEvPKT_PKiPT0_ll15HIP_vector_typeIjLj3EEmmmmmmmmm.num_agpr, 0
	.set _ZL16k_get_rows_floatI6__halfiEvPKT_PKiPT0_ll15HIP_vector_typeIjLj3EEmmmmmmmmm.numbered_sgpr, 50
	.set _ZL16k_get_rows_floatI6__halfiEvPKT_PKiPT0_ll15HIP_vector_typeIjLj3EEmmmmmmmmm.num_named_barrier, 0
	.set _ZL16k_get_rows_floatI6__halfiEvPKT_PKiPT0_ll15HIP_vector_typeIjLj3EEmmmmmmmmm.private_seg_size, 0
	.set _ZL16k_get_rows_floatI6__halfiEvPKT_PKiPT0_ll15HIP_vector_typeIjLj3EEmmmmmmmmm.uses_vcc, 1
	.set _ZL16k_get_rows_floatI6__halfiEvPKT_PKiPT0_ll15HIP_vector_typeIjLj3EEmmmmmmmmm.uses_flat_scratch, 0
	.set _ZL16k_get_rows_floatI6__halfiEvPKT_PKiPT0_ll15HIP_vector_typeIjLj3EEmmmmmmmmm.has_dyn_sized_stack, 0
	.set _ZL16k_get_rows_floatI6__halfiEvPKT_PKiPT0_ll15HIP_vector_typeIjLj3EEmmmmmmmmm.has_recursion, 0
	.set _ZL16k_get_rows_floatI6__halfiEvPKT_PKiPT0_ll15HIP_vector_typeIjLj3EEmmmmmmmmm.has_indirect_call, 0
	.section	.AMDGPU.csdata,"",@progbits
; Kernel info:
; codeLenInByte = 640
; TotalNumSgprs: 52
; NumVgprs: 16
; ScratchSize: 0
; MemoryBound: 0
; FloatMode: 240
; IeeeMode: 1
; LDSByteSize: 0 bytes/workgroup (compile time only)
; SGPRBlocks: 0
; VGPRBlocks: 0
; NumSGPRsForWavesPerEU: 52
; NumVGPRsForWavesPerEU: 16
; NamedBarCnt: 0
; Occupancy: 16
; WaveLimiterHint : 1
; COMPUTE_PGM_RSRC2:SCRATCH_EN: 0
; COMPUTE_PGM_RSRC2:USER_SGPR: 2
; COMPUTE_PGM_RSRC2:TRAP_HANDLER: 0
; COMPUTE_PGM_RSRC2:TGID_X_EN: 1
; COMPUTE_PGM_RSRC2:TGID_Y_EN: 1
; COMPUTE_PGM_RSRC2:TGID_Z_EN: 1
; COMPUTE_PGM_RSRC2:TIDIG_COMP_CNT: 0
	.section	.text._ZL16k_get_rows_floatIfiEvPKT_PKiPT0_ll15HIP_vector_typeIjLj3EEmmmmmmmmm,"axG",@progbits,_ZL16k_get_rows_floatIfiEvPKT_PKiPT0_ll15HIP_vector_typeIjLj3EEmmmmmmmmm,comdat
	.globl	_ZL16k_get_rows_floatIfiEvPKT_PKiPT0_ll15HIP_vector_typeIjLj3EEmmmmmmmmm ; -- Begin function _ZL16k_get_rows_floatIfiEvPKT_PKiPT0_ll15HIP_vector_typeIjLj3EEmmmmmmmmm
	.p2align	8
	.type	_ZL16k_get_rows_floatIfiEvPKT_PKiPT0_ll15HIP_vector_typeIjLj3EEmmmmmmmmm,@function
_ZL16k_get_rows_floatIfiEvPKT_PKiPT0_ll15HIP_vector_typeIjLj3EEmmmmmmmmm: ; @_ZL16k_get_rows_floatIfiEvPKT_PKiPT0_ll15HIP_vector_typeIjLj3EEmmmmmmmmm
; %bb.0:
	s_clause 0x1
	s_load_b64 s[2:3], s[0:1], 0x2c
	s_load_b64 s[4:5], s[0:1], 0x20
	s_bfe_u32 s6, ttmp6, 0x40014
	s_lshr_b32 s8, ttmp7, 16
	s_add_co_i32 s6, s6, 1
	s_bfe_u32 s7, ttmp6, 0x40008
	s_mul_i32 s6, s8, s6
	s_mov_b32 s29, 0
	s_getreg_b32 s36, hwreg(HW_REG_IB_STS2, 6, 4)
	s_add_co_i32 s9, s7, s6
	s_cmp_eq_u32 s36, 0
	s_mov_b32 s7, s29
	s_cselect_b32 s28, s8, s9
	s_wait_kmcnt 0x0
	s_mov_b32 s6, s3
	s_delay_alu instid0(SALU_CYCLE_1) | instskip(NEXT) | instid1(SALU_CYCLE_1)
	s_mul_u64 s[30:31], s[4:5], s[6:7]
	v_cmp_le_i64_e64 s4, s[30:31], s[28:29]
	s_and_b32 vcc_lo, exec_lo, s4
	s_cbranch_vccnz .LBB11_6
; %bb.1:
	s_clause 0x2
	s_load_b64 s[34:35], s[0:1], 0x88
	s_load_b256 s[20:27], s[0:1], 0x0
	s_load_b512 s[4:19], s[0:1], 0x38
	s_bfe_u32 s37, ttmp6, 0x4000c
	s_bfe_u32 s39, ttmp6, 0x40010
	s_and_b32 s38, ttmp7, 0xffff
	s_add_co_i32 s37, s37, 1
	s_add_co_i32 s39, s39, 1
	s_and_b32 s33, ttmp6, 15
	s_bfe_u32 s40, ttmp6, 0x40004
	s_mul_i32 s37, ttmp9, s37
	s_mul_i32 s39, s38, s39
	s_add_co_i32 s41, s33, s37
	s_add_co_i32 s40, s40, s39
	v_mov_b32_e32 v1, 0
	s_mov_b32 s39, s29
	s_wait_kmcnt 0x0
	s_and_b32 s33, s35, 0xffff
	s_cmp_eq_u32 s36, 0
	s_cselect_b32 s35, s38, s40
	s_clause 0x1
	s_load_b64 s[36:37], s[0:1], 0x78
	s_load_b32 s38, s[0:1], 0x28
	v_mad_u32 v0, s35, s33, v0
	s_cselect_b32 s42, ttmp9, s41
	s_add_nc_u64 s[40:41], s[0:1], 0x80
	s_ashr_i32 s43, s42, 31
	s_mov_b32 s35, s29
	s_wait_xcnt 0x0
	s_mul_u64 s[0:1], s[4:5], s[42:43]
	s_mul_u64 s[4:5], s[16:17], s[42:43]
	s_lshl_b64 s[0:1], s[0:1], 2
	s_lshl_b64 s[16:17], s[4:5], 2
	s_add_nc_u64 s[4:5], s[24:25], s[0:1]
	s_add_nc_u64 s[16:17], s[22:23], s[16:17]
	v_lshlrev_b64_e32 v[4:5], 2, v[0:1]
	v_cmp_gt_i64_e64 s0, s[26:27], v[0:1]
	s_lshl_b64 s[6:7], s[6:7], 2
	s_lshl_b64 s[8:9], s[8:9], 2
	v_add_nc_u64_e32 v[2:3], s[4:5], v[4:5]
	v_add_nc_u64_e32 v[4:5], s[20:21], v[4:5]
	s_mov_b64 s[4:5], 0xffffffff
	s_mov_b64 s[20:21], s[28:29]
	s_branch .LBB11_3
.LBB11_2:                               ;   in Loop: Header=BB11_3 Depth=1
	s_or_b32 exec_lo, exec_lo, s1
	s_add_nc_u64 s[20:21], s[20:21], s[34:35]
	s_delay_alu instid0(SALU_CYCLE_1)
	v_cmp_lt_i64_e64 s1, s[20:21], s[30:31]
	s_and_b32 vcc_lo, exec_lo, s1
	s_cbranch_vccz .LBB11_6
.LBB11_3:                               ; =>This Loop Header: Depth=1
                                        ;     Child Loop BB11_5 Depth 2
	s_and_saveexec_b32 s1, s0
	s_cbranch_execz .LBB11_2
; %bb.4:                                ;   in Loop: Header=BB11_3 Depth=1
	s_and_b64 s[22:23], s[20:21], s[4:5]
	s_load_b32 s28, s[40:41], 0x4
	s_wait_kmcnt 0x0
	s_mul_u64 s[22:23], s[22:23], s[38:39]
	v_mov_b64_e32 v[10:11], v[0:1]
	s_add_co_i32 s22, s23, s20
	s_delay_alu instid0(SALU_CYCLE_1) | instskip(NEXT) | instid1(SALU_CYCLE_1)
	s_lshr_b32 s22, s22, s2
	s_mul_i32 s24, s22, s3
	s_ashr_i32 s23, s22, 31
	s_sub_co_i32 s24, s20, s24
	s_mul_u64 s[42:43], s[18:19], s[22:23]
	s_ashr_i32 s25, s24, 31
	s_mul_u64 s[44:45], s[12:13], s[22:23]
	s_mul_u64 s[46:47], s[6:7], s[22:23]
	s_lshl_b64 s[22:23], s[42:43], 2
	s_mul_u64 s[42:43], s[36:37], s[24:25]
	s_add_nc_u64 s[22:23], s[16:17], s[22:23]
	s_mul_u64 s[48:49], s[8:9], s[24:25]
	s_lshl_b64 s[42:43], s[42:43], 2
	s_mul_u64 s[24:25], s[14:15], s[24:25]
	s_add_nc_u64 s[22:23], s[22:23], s[42:43]
	s_add_nc_u64 s[42:43], s[46:47], s[48:49]
	;; [unrolled: 1-line block ×3, first 2 shown]
	v_add_nc_u64_e32 v[6:7], s[42:43], v[2:3]
	v_add_nc_u64_e32 v[8:9], s[24:25], v[4:5]
	s_mul_i32 s28, s28, s33
	s_mov_b64 s[42:43], 0
	s_lshl_b64 s[24:25], s[28:29], 2
	s_mov_b32 s44, 0
.LBB11_5:                               ;   Parent Loop BB11_3 Depth=1
                                        ; =>  This Inner Loop Header: Depth=2
	global_load_b32 v12, v1, s[22:23]
	v_add_nc_u64_e32 v[10:11], s[28:29], v[10:11]
	s_delay_alu instid0(VALU_DEP_1) | instskip(SKIP_3) | instid1(VALU_DEP_1)
	v_cmp_le_i64_e32 vcc_lo, s[26:27], v[10:11]
	s_or_b32 s44, vcc_lo, s44
	s_wait_loadcnt 0x0
	v_ashrrev_i32_e32 v13, 31, v12
	v_mul_u64_e32 v[12:13], s[10:11], v[12:13]
	s_delay_alu instid0(VALU_DEP_1) | instskip(NEXT) | instid1(VALU_DEP_1)
	v_add_nc_u64_e32 v[12:13], s[42:43], v[12:13]
	v_add_nc_u64_e32 v[12:13], v[8:9], v[12:13]
	global_load_b32 v14, v[12:13], off
	s_wait_xcnt 0x0
	v_add_nc_u64_e32 v[12:13], s[42:43], v[6:7]
	s_add_nc_u64 s[42:43], s[42:43], s[24:25]
	s_wait_loadcnt 0x0
	v_cvt_i32_f32_e32 v14, v14
	global_store_b32 v[12:13], v14, off
	s_wait_xcnt 0x0
	s_and_not1_b32 exec_lo, exec_lo, s44
	s_cbranch_execnz .LBB11_5
	s_branch .LBB11_2
.LBB11_6:
	s_endpgm
	.section	.rodata,"a",@progbits
	.p2align	6, 0x0
	.amdhsa_kernel _ZL16k_get_rows_floatIfiEvPKT_PKiPT0_ll15HIP_vector_typeIjLj3EEmmmmmmmmm
		.amdhsa_group_segment_fixed_size 0
		.amdhsa_private_segment_fixed_size 0
		.amdhsa_kernarg_size 384
		.amdhsa_user_sgpr_count 2
		.amdhsa_user_sgpr_dispatch_ptr 0
		.amdhsa_user_sgpr_queue_ptr 0
		.amdhsa_user_sgpr_kernarg_segment_ptr 1
		.amdhsa_user_sgpr_dispatch_id 0
		.amdhsa_user_sgpr_kernarg_preload_length 0
		.amdhsa_user_sgpr_kernarg_preload_offset 0
		.amdhsa_user_sgpr_private_segment_size 0
		.amdhsa_wavefront_size32 1
		.amdhsa_uses_dynamic_stack 0
		.amdhsa_enable_private_segment 0
		.amdhsa_system_sgpr_workgroup_id_x 1
		.amdhsa_system_sgpr_workgroup_id_y 1
		.amdhsa_system_sgpr_workgroup_id_z 1
		.amdhsa_system_sgpr_workgroup_info 0
		.amdhsa_system_vgpr_workitem_id 0
		.amdhsa_next_free_vgpr 15
		.amdhsa_next_free_sgpr 50
		.amdhsa_named_barrier_count 0
		.amdhsa_reserve_vcc 1
		.amdhsa_float_round_mode_32 0
		.amdhsa_float_round_mode_16_64 0
		.amdhsa_float_denorm_mode_32 3
		.amdhsa_float_denorm_mode_16_64 3
		.amdhsa_fp16_overflow 0
		.amdhsa_memory_ordered 1
		.amdhsa_forward_progress 1
		.amdhsa_inst_pref_size 5
		.amdhsa_round_robin_scheduling 0
		.amdhsa_exception_fp_ieee_invalid_op 0
		.amdhsa_exception_fp_denorm_src 0
		.amdhsa_exception_fp_ieee_div_zero 0
		.amdhsa_exception_fp_ieee_overflow 0
		.amdhsa_exception_fp_ieee_underflow 0
		.amdhsa_exception_fp_ieee_inexact 0
		.amdhsa_exception_int_div_zero 0
	.end_amdhsa_kernel
	.section	.text._ZL16k_get_rows_floatIfiEvPKT_PKiPT0_ll15HIP_vector_typeIjLj3EEmmmmmmmmm,"axG",@progbits,_ZL16k_get_rows_floatIfiEvPKT_PKiPT0_ll15HIP_vector_typeIjLj3EEmmmmmmmmm,comdat
.Lfunc_end11:
	.size	_ZL16k_get_rows_floatIfiEvPKT_PKiPT0_ll15HIP_vector_typeIjLj3EEmmmmmmmmm, .Lfunc_end11-_ZL16k_get_rows_floatIfiEvPKT_PKiPT0_ll15HIP_vector_typeIjLj3EEmmmmmmmmm
                                        ; -- End function
	.set _ZL16k_get_rows_floatIfiEvPKT_PKiPT0_ll15HIP_vector_typeIjLj3EEmmmmmmmmm.num_vgpr, 15
	.set _ZL16k_get_rows_floatIfiEvPKT_PKiPT0_ll15HIP_vector_typeIjLj3EEmmmmmmmmm.num_agpr, 0
	.set _ZL16k_get_rows_floatIfiEvPKT_PKiPT0_ll15HIP_vector_typeIjLj3EEmmmmmmmmm.numbered_sgpr, 50
	.set _ZL16k_get_rows_floatIfiEvPKT_PKiPT0_ll15HIP_vector_typeIjLj3EEmmmmmmmmm.num_named_barrier, 0
	.set _ZL16k_get_rows_floatIfiEvPKT_PKiPT0_ll15HIP_vector_typeIjLj3EEmmmmmmmmm.private_seg_size, 0
	.set _ZL16k_get_rows_floatIfiEvPKT_PKiPT0_ll15HIP_vector_typeIjLj3EEmmmmmmmmm.uses_vcc, 1
	.set _ZL16k_get_rows_floatIfiEvPKT_PKiPT0_ll15HIP_vector_typeIjLj3EEmmmmmmmmm.uses_flat_scratch, 0
	.set _ZL16k_get_rows_floatIfiEvPKT_PKiPT0_ll15HIP_vector_typeIjLj3EEmmmmmmmmm.has_dyn_sized_stack, 0
	.set _ZL16k_get_rows_floatIfiEvPKT_PKiPT0_ll15HIP_vector_typeIjLj3EEmmmmmmmmm.has_recursion, 0
	.set _ZL16k_get_rows_floatIfiEvPKT_PKiPT0_ll15HIP_vector_typeIjLj3EEmmmmmmmmm.has_indirect_call, 0
	.section	.AMDGPU.csdata,"",@progbits
; Kernel info:
; codeLenInByte = 616
; TotalNumSgprs: 52
; NumVgprs: 15
; ScratchSize: 0
; MemoryBound: 0
; FloatMode: 240
; IeeeMode: 1
; LDSByteSize: 0 bytes/workgroup (compile time only)
; SGPRBlocks: 0
; VGPRBlocks: 0
; NumSGPRsForWavesPerEU: 52
; NumVGPRsForWavesPerEU: 15
; NamedBarCnt: 0
; Occupancy: 16
; WaveLimiterHint : 1
; COMPUTE_PGM_RSRC2:SCRATCH_EN: 0
; COMPUTE_PGM_RSRC2:USER_SGPR: 2
; COMPUTE_PGM_RSRC2:TRAP_HANDLER: 0
; COMPUTE_PGM_RSRC2:TGID_X_EN: 1
; COMPUTE_PGM_RSRC2:TGID_Y_EN: 1
; COMPUTE_PGM_RSRC2:TGID_Z_EN: 1
; COMPUTE_PGM_RSRC2:TIDIG_COMP_CNT: 0
	.section	.text._ZL16k_get_rows_floatIiiEvPKT_PKiPT0_ll15HIP_vector_typeIjLj3EEmmmmmmmmm,"axG",@progbits,_ZL16k_get_rows_floatIiiEvPKT_PKiPT0_ll15HIP_vector_typeIjLj3EEmmmmmmmmm,comdat
	.globl	_ZL16k_get_rows_floatIiiEvPKT_PKiPT0_ll15HIP_vector_typeIjLj3EEmmmmmmmmm ; -- Begin function _ZL16k_get_rows_floatIiiEvPKT_PKiPT0_ll15HIP_vector_typeIjLj3EEmmmmmmmmm
	.p2align	8
	.type	_ZL16k_get_rows_floatIiiEvPKT_PKiPT0_ll15HIP_vector_typeIjLj3EEmmmmmmmmm,@function
_ZL16k_get_rows_floatIiiEvPKT_PKiPT0_ll15HIP_vector_typeIjLj3EEmmmmmmmmm: ; @_ZL16k_get_rows_floatIiiEvPKT_PKiPT0_ll15HIP_vector_typeIjLj3EEmmmmmmmmm
; %bb.0:
	s_clause 0x1
	s_load_b64 s[2:3], s[0:1], 0x2c
	s_load_b64 s[4:5], s[0:1], 0x20
	s_bfe_u32 s6, ttmp6, 0x40014
	s_lshr_b32 s8, ttmp7, 16
	s_add_co_i32 s6, s6, 1
	s_bfe_u32 s7, ttmp6, 0x40008
	s_mul_i32 s6, s8, s6
	s_mov_b32 s29, 0
	s_getreg_b32 s36, hwreg(HW_REG_IB_STS2, 6, 4)
	s_add_co_i32 s9, s7, s6
	s_cmp_eq_u32 s36, 0
	s_mov_b32 s7, s29
	s_cselect_b32 s28, s8, s9
	s_wait_kmcnt 0x0
	s_mov_b32 s6, s3
	s_delay_alu instid0(SALU_CYCLE_1) | instskip(NEXT) | instid1(SALU_CYCLE_1)
	s_mul_u64 s[30:31], s[4:5], s[6:7]
	v_cmp_le_i64_e64 s4, s[30:31], s[28:29]
	s_and_b32 vcc_lo, exec_lo, s4
	s_cbranch_vccnz .LBB12_6
; %bb.1:
	s_clause 0x2
	s_load_b64 s[34:35], s[0:1], 0x88
	s_load_b256 s[20:27], s[0:1], 0x0
	s_load_b512 s[4:19], s[0:1], 0x38
	s_bfe_u32 s37, ttmp6, 0x4000c
	s_bfe_u32 s39, ttmp6, 0x40010
	s_and_b32 s38, ttmp7, 0xffff
	s_add_co_i32 s37, s37, 1
	s_add_co_i32 s39, s39, 1
	s_and_b32 s33, ttmp6, 15
	s_bfe_u32 s40, ttmp6, 0x40004
	s_mul_i32 s37, ttmp9, s37
	s_mul_i32 s39, s38, s39
	s_add_co_i32 s41, s33, s37
	s_add_co_i32 s40, s40, s39
	v_mov_b32_e32 v1, 0
	s_mov_b32 s39, s29
	s_wait_kmcnt 0x0
	s_and_b32 s33, s35, 0xffff
	s_cmp_eq_u32 s36, 0
	s_cselect_b32 s35, s38, s40
	s_clause 0x1
	s_load_b64 s[36:37], s[0:1], 0x78
	s_load_b32 s38, s[0:1], 0x28
	v_mad_u32 v0, s35, s33, v0
	s_cselect_b32 s42, ttmp9, s41
	s_add_nc_u64 s[40:41], s[0:1], 0x80
	s_ashr_i32 s43, s42, 31
	s_mov_b32 s35, s29
	s_wait_xcnt 0x0
	s_mul_u64 s[0:1], s[4:5], s[42:43]
	s_mul_u64 s[4:5], s[16:17], s[42:43]
	s_lshl_b64 s[0:1], s[0:1], 2
	s_lshl_b64 s[16:17], s[4:5], 2
	s_add_nc_u64 s[4:5], s[24:25], s[0:1]
	s_add_nc_u64 s[16:17], s[22:23], s[16:17]
	v_lshlrev_b64_e32 v[4:5], 2, v[0:1]
	v_cmp_gt_i64_e64 s0, s[26:27], v[0:1]
	s_lshl_b64 s[6:7], s[6:7], 2
	s_lshl_b64 s[8:9], s[8:9], 2
	v_add_nc_u64_e32 v[2:3], s[4:5], v[4:5]
	v_add_nc_u64_e32 v[4:5], s[20:21], v[4:5]
	s_mov_b64 s[4:5], 0xffffffff
	s_mov_b64 s[20:21], s[28:29]
	s_branch .LBB12_3
.LBB12_2:                               ;   in Loop: Header=BB12_3 Depth=1
	s_or_b32 exec_lo, exec_lo, s1
	s_add_nc_u64 s[20:21], s[20:21], s[34:35]
	s_delay_alu instid0(SALU_CYCLE_1)
	v_cmp_lt_i64_e64 s1, s[20:21], s[30:31]
	s_and_b32 vcc_lo, exec_lo, s1
	s_cbranch_vccz .LBB12_6
.LBB12_3:                               ; =>This Loop Header: Depth=1
                                        ;     Child Loop BB12_5 Depth 2
	s_and_saveexec_b32 s1, s0
	s_cbranch_execz .LBB12_2
; %bb.4:                                ;   in Loop: Header=BB12_3 Depth=1
	s_and_b64 s[22:23], s[20:21], s[4:5]
	s_load_b32 s28, s[40:41], 0x4
	s_wait_kmcnt 0x0
	s_mul_u64 s[22:23], s[22:23], s[38:39]
	v_mov_b64_e32 v[10:11], v[0:1]
	s_add_co_i32 s22, s23, s20
	s_delay_alu instid0(SALU_CYCLE_1) | instskip(NEXT) | instid1(SALU_CYCLE_1)
	s_lshr_b32 s22, s22, s2
	s_mul_i32 s24, s22, s3
	s_ashr_i32 s23, s22, 31
	s_sub_co_i32 s24, s20, s24
	s_mul_u64 s[42:43], s[18:19], s[22:23]
	s_ashr_i32 s25, s24, 31
	s_mul_u64 s[44:45], s[12:13], s[22:23]
	s_mul_u64 s[46:47], s[6:7], s[22:23]
	s_lshl_b64 s[22:23], s[42:43], 2
	s_mul_u64 s[42:43], s[36:37], s[24:25]
	s_add_nc_u64 s[22:23], s[16:17], s[22:23]
	s_mul_u64 s[48:49], s[8:9], s[24:25]
	s_lshl_b64 s[42:43], s[42:43], 2
	s_mul_u64 s[24:25], s[14:15], s[24:25]
	s_add_nc_u64 s[22:23], s[22:23], s[42:43]
	s_add_nc_u64 s[42:43], s[46:47], s[48:49]
	;; [unrolled: 1-line block ×3, first 2 shown]
	v_add_nc_u64_e32 v[6:7], s[42:43], v[2:3]
	v_add_nc_u64_e32 v[8:9], s[24:25], v[4:5]
	s_mul_i32 s28, s28, s33
	s_mov_b64 s[42:43], 0
	s_lshl_b64 s[24:25], s[28:29], 2
	s_mov_b32 s44, 0
.LBB12_5:                               ;   Parent Loop BB12_3 Depth=1
                                        ; =>  This Inner Loop Header: Depth=2
	global_load_b32 v12, v1, s[22:23]
	v_add_nc_u64_e32 v[10:11], s[28:29], v[10:11]
	s_delay_alu instid0(VALU_DEP_1) | instskip(SKIP_3) | instid1(VALU_DEP_1)
	v_cmp_le_i64_e32 vcc_lo, s[26:27], v[10:11]
	s_or_b32 s44, vcc_lo, s44
	s_wait_loadcnt 0x0
	v_ashrrev_i32_e32 v13, 31, v12
	v_mul_u64_e32 v[12:13], s[10:11], v[12:13]
	s_delay_alu instid0(VALU_DEP_1) | instskip(NEXT) | instid1(VALU_DEP_1)
	v_add_nc_u64_e32 v[12:13], s[42:43], v[12:13]
	v_add_nc_u64_e32 v[12:13], v[8:9], v[12:13]
	global_load_b32 v14, v[12:13], off
	s_wait_xcnt 0x0
	v_add_nc_u64_e32 v[12:13], s[42:43], v[6:7]
	s_add_nc_u64 s[42:43], s[42:43], s[24:25]
	s_wait_loadcnt 0x0
	global_store_b32 v[12:13], v14, off
	s_wait_xcnt 0x0
	s_and_not1_b32 exec_lo, exec_lo, s44
	s_cbranch_execnz .LBB12_5
	s_branch .LBB12_2
.LBB12_6:
	s_endpgm
	.section	.rodata,"a",@progbits
	.p2align	6, 0x0
	.amdhsa_kernel _ZL16k_get_rows_floatIiiEvPKT_PKiPT0_ll15HIP_vector_typeIjLj3EEmmmmmmmmm
		.amdhsa_group_segment_fixed_size 0
		.amdhsa_private_segment_fixed_size 0
		.amdhsa_kernarg_size 384
		.amdhsa_user_sgpr_count 2
		.amdhsa_user_sgpr_dispatch_ptr 0
		.amdhsa_user_sgpr_queue_ptr 0
		.amdhsa_user_sgpr_kernarg_segment_ptr 1
		.amdhsa_user_sgpr_dispatch_id 0
		.amdhsa_user_sgpr_kernarg_preload_length 0
		.amdhsa_user_sgpr_kernarg_preload_offset 0
		.amdhsa_user_sgpr_private_segment_size 0
		.amdhsa_wavefront_size32 1
		.amdhsa_uses_dynamic_stack 0
		.amdhsa_enable_private_segment 0
		.amdhsa_system_sgpr_workgroup_id_x 1
		.amdhsa_system_sgpr_workgroup_id_y 1
		.amdhsa_system_sgpr_workgroup_id_z 1
		.amdhsa_system_sgpr_workgroup_info 0
		.amdhsa_system_vgpr_workitem_id 0
		.amdhsa_next_free_vgpr 15
		.amdhsa_next_free_sgpr 50
		.amdhsa_named_barrier_count 0
		.amdhsa_reserve_vcc 1
		.amdhsa_float_round_mode_32 0
		.amdhsa_float_round_mode_16_64 0
		.amdhsa_float_denorm_mode_32 3
		.amdhsa_float_denorm_mode_16_64 3
		.amdhsa_fp16_overflow 0
		.amdhsa_memory_ordered 1
		.amdhsa_forward_progress 1
		.amdhsa_inst_pref_size 5
		.amdhsa_round_robin_scheduling 0
		.amdhsa_exception_fp_ieee_invalid_op 0
		.amdhsa_exception_fp_denorm_src 0
		.amdhsa_exception_fp_ieee_div_zero 0
		.amdhsa_exception_fp_ieee_overflow 0
		.amdhsa_exception_fp_ieee_underflow 0
		.amdhsa_exception_fp_ieee_inexact 0
		.amdhsa_exception_int_div_zero 0
	.end_amdhsa_kernel
	.section	.text._ZL16k_get_rows_floatIiiEvPKT_PKiPT0_ll15HIP_vector_typeIjLj3EEmmmmmmmmm,"axG",@progbits,_ZL16k_get_rows_floatIiiEvPKT_PKiPT0_ll15HIP_vector_typeIjLj3EEmmmmmmmmm,comdat
.Lfunc_end12:
	.size	_ZL16k_get_rows_floatIiiEvPKT_PKiPT0_ll15HIP_vector_typeIjLj3EEmmmmmmmmm, .Lfunc_end12-_ZL16k_get_rows_floatIiiEvPKT_PKiPT0_ll15HIP_vector_typeIjLj3EEmmmmmmmmm
                                        ; -- End function
	.set _ZL16k_get_rows_floatIiiEvPKT_PKiPT0_ll15HIP_vector_typeIjLj3EEmmmmmmmmm.num_vgpr, 15
	.set _ZL16k_get_rows_floatIiiEvPKT_PKiPT0_ll15HIP_vector_typeIjLj3EEmmmmmmmmm.num_agpr, 0
	.set _ZL16k_get_rows_floatIiiEvPKT_PKiPT0_ll15HIP_vector_typeIjLj3EEmmmmmmmmm.numbered_sgpr, 50
	.set _ZL16k_get_rows_floatIiiEvPKT_PKiPT0_ll15HIP_vector_typeIjLj3EEmmmmmmmmm.num_named_barrier, 0
	.set _ZL16k_get_rows_floatIiiEvPKT_PKiPT0_ll15HIP_vector_typeIjLj3EEmmmmmmmmm.private_seg_size, 0
	.set _ZL16k_get_rows_floatIiiEvPKT_PKiPT0_ll15HIP_vector_typeIjLj3EEmmmmmmmmm.uses_vcc, 1
	.set _ZL16k_get_rows_floatIiiEvPKT_PKiPT0_ll15HIP_vector_typeIjLj3EEmmmmmmmmm.uses_flat_scratch, 0
	.set _ZL16k_get_rows_floatIiiEvPKT_PKiPT0_ll15HIP_vector_typeIjLj3EEmmmmmmmmm.has_dyn_sized_stack, 0
	.set _ZL16k_get_rows_floatIiiEvPKT_PKiPT0_ll15HIP_vector_typeIjLj3EEmmmmmmmmm.has_recursion, 0
	.set _ZL16k_get_rows_floatIiiEvPKT_PKiPT0_ll15HIP_vector_typeIjLj3EEmmmmmmmmm.has_indirect_call, 0
	.section	.AMDGPU.csdata,"",@progbits
; Kernel info:
; codeLenInByte = 612
; TotalNumSgprs: 52
; NumVgprs: 15
; ScratchSize: 0
; MemoryBound: 0
; FloatMode: 240
; IeeeMode: 1
; LDSByteSize: 0 bytes/workgroup (compile time only)
; SGPRBlocks: 0
; VGPRBlocks: 0
; NumSGPRsForWavesPerEU: 52
; NumVGPRsForWavesPerEU: 15
; NamedBarCnt: 0
; Occupancy: 16
; WaveLimiterHint : 1
; COMPUTE_PGM_RSRC2:SCRATCH_EN: 0
; COMPUTE_PGM_RSRC2:USER_SGPR: 2
; COMPUTE_PGM_RSRC2:TRAP_HANDLER: 0
; COMPUTE_PGM_RSRC2:TGID_X_EN: 1
; COMPUTE_PGM_RSRC2:TGID_Y_EN: 1
; COMPUTE_PGM_RSRC2:TGID_Z_EN: 1
; COMPUTE_PGM_RSRC2:TIDIG_COMP_CNT: 0
	.section	.text._ZL16k_get_rows_floatI14__hip_bfloat16iEvPKT_PKiPT0_ll15HIP_vector_typeIjLj3EEmmmmmmmmm,"axG",@progbits,_ZL16k_get_rows_floatI14__hip_bfloat16iEvPKT_PKiPT0_ll15HIP_vector_typeIjLj3EEmmmmmmmmm,comdat
	.globl	_ZL16k_get_rows_floatI14__hip_bfloat16iEvPKT_PKiPT0_ll15HIP_vector_typeIjLj3EEmmmmmmmmm ; -- Begin function _ZL16k_get_rows_floatI14__hip_bfloat16iEvPKT_PKiPT0_ll15HIP_vector_typeIjLj3EEmmmmmmmmm
	.p2align	8
	.type	_ZL16k_get_rows_floatI14__hip_bfloat16iEvPKT_PKiPT0_ll15HIP_vector_typeIjLj3EEmmmmmmmmm,@function
_ZL16k_get_rows_floatI14__hip_bfloat16iEvPKT_PKiPT0_ll15HIP_vector_typeIjLj3EEmmmmmmmmm: ; @_ZL16k_get_rows_floatI14__hip_bfloat16iEvPKT_PKiPT0_ll15HIP_vector_typeIjLj3EEmmmmmmmmm
; %bb.0:
	s_clause 0x1
	s_load_b64 s[2:3], s[0:1], 0x2c
	s_load_b64 s[4:5], s[0:1], 0x20
	s_bfe_u32 s6, ttmp6, 0x40014
	s_lshr_b32 s8, ttmp7, 16
	s_add_co_i32 s6, s6, 1
	s_bfe_u32 s7, ttmp6, 0x40008
	s_mul_i32 s6, s8, s6
	s_mov_b32 s29, 0
	s_getreg_b32 s39, hwreg(HW_REG_IB_STS2, 6, 4)
	s_add_co_i32 s9, s7, s6
	s_cmp_eq_u32 s39, 0
	s_mov_b32 s7, s29
	s_cselect_b32 s28, s8, s9
	s_wait_kmcnt 0x0
	s_mov_b32 s6, s3
	s_delay_alu instid0(SALU_CYCLE_1) | instskip(NEXT) | instid1(SALU_CYCLE_1)
	s_mul_u64 s[30:31], s[4:5], s[6:7]
	v_cmp_le_i64_e64 s4, s[30:31], s[28:29]
	s_and_b32 vcc_lo, exec_lo, s4
	s_cbranch_vccnz .LBB13_6
; %bb.1:
	s_clause 0x4
	s_load_b64 s[34:35], s[0:1], 0x88
	s_load_b64 s[36:37], s[0:1], 0x78
	s_load_b256 s[20:27], s[0:1], 0x0
	s_load_b32 s38, s[0:1], 0x28
	s_load_b512 s[4:19], s[0:1], 0x38
	s_bfe_u32 s40, ttmp6, 0x4000c
	s_bfe_u32 s42, ttmp6, 0x40010
	s_and_b32 s41, ttmp7, 0xffff
	s_add_co_i32 s40, s40, 1
	s_add_co_i32 s42, s42, 1
	s_and_b32 s33, ttmp6, 15
	s_bfe_u32 s43, ttmp6, 0x40004
	s_mul_i32 s40, ttmp9, s40
	s_mul_i32 s42, s41, s42
	s_add_co_i32 s44, s33, s40
	s_add_co_i32 s43, s43, s42
	v_mov_b32_e32 v1, 0
	s_wait_kmcnt 0x0
	s_and_b32 s33, s35, 0xffff
	s_cmp_eq_u32 s39, 0
	s_mov_b32 s39, s29
	s_cselect_b32 s35, s41, s43
	s_add_nc_u64 s[40:41], s[0:1], 0x80
	v_mad_u32 v0, s35, s33, v0
	s_cselect_b32 s0, ttmp9, s44
	s_mov_b32 s35, s29
	s_ashr_i32 s1, s0, 31
	s_lshl_b64 s[6:7], s[6:7], 2
	s_mul_u64 s[16:17], s[16:17], s[0:1]
	s_mul_u64 s[0:1], s[4:5], s[0:1]
	s_lshl_b64 s[4:5], s[16:17], 2
	s_lshl_b64 s[0:1], s[0:1], 2
	s_add_nc_u64 s[4:5], s[22:23], s[4:5]
	s_add_nc_u64 s[22:23], s[24:25], s[0:1]
	v_cmp_gt_i64_e64 s0, s[26:27], v[0:1]
	v_lshl_add_u64 v[2:3], v[0:1], 2, s[22:23]
	v_lshl_add_u64 v[4:5], v[0:1], 1, s[20:21]
	s_mov_b64 s[16:17], 0xffffffff
	s_lshl_b64 s[8:9], s[8:9], 2
	s_mov_b64 s[20:21], s[28:29]
	s_branch .LBB13_3
.LBB13_2:                               ;   in Loop: Header=BB13_3 Depth=1
	s_or_b32 exec_lo, exec_lo, s1
	s_add_nc_u64 s[20:21], s[20:21], s[34:35]
	s_delay_alu instid0(SALU_CYCLE_1)
	v_cmp_lt_i64_e64 s1, s[20:21], s[30:31]
	s_and_b32 vcc_lo, exec_lo, s1
	s_cbranch_vccz .LBB13_6
.LBB13_3:                               ; =>This Loop Header: Depth=1
                                        ;     Child Loop BB13_5 Depth 2
	s_and_saveexec_b32 s1, s0
	s_cbranch_execz .LBB13_2
; %bb.4:                                ;   in Loop: Header=BB13_3 Depth=1
	s_and_b64 s[22:23], s[20:21], s[16:17]
	s_load_b32 s28, s[40:41], 0x4
	s_mul_u64 s[22:23], s[22:23], s[38:39]
	v_mov_b64_e32 v[10:11], v[0:1]
	s_add_co_i32 s22, s23, s20
	s_delay_alu instid0(SALU_CYCLE_1) | instskip(NEXT) | instid1(SALU_CYCLE_1)
	s_lshr_b32 s22, s22, s2
	s_mul_i32 s24, s22, s3
	s_ashr_i32 s23, s22, 31
	s_sub_co_i32 s24, s20, s24
	s_mul_u64 s[42:43], s[18:19], s[22:23]
	s_ashr_i32 s25, s24, 31
	s_mul_u64 s[44:45], s[12:13], s[22:23]
	s_mul_u64 s[46:47], s[6:7], s[22:23]
	s_lshl_b64 s[22:23], s[42:43], 2
	s_mul_u64 s[42:43], s[36:37], s[24:25]
	s_add_nc_u64 s[22:23], s[4:5], s[22:23]
	s_mul_u64 s[48:49], s[8:9], s[24:25]
	s_lshl_b64 s[42:43], s[42:43], 2
	s_mul_u64 s[24:25], s[14:15], s[24:25]
	s_add_nc_u64 s[22:23], s[22:23], s[42:43]
	s_add_nc_u64 s[42:43], s[46:47], s[48:49]
	;; [unrolled: 1-line block ×3, first 2 shown]
	v_add_nc_u64_e32 v[6:7], s[42:43], v[2:3]
	v_add_nc_u64_e32 v[8:9], s[24:25], v[4:5]
	s_wait_kmcnt 0x0
	s_mul_i32 s28, s28, s33
	s_mov_b32 s44, 0
	s_lshl_b64 s[24:25], s[28:29], 2
	s_lshl_b64 s[42:43], s[28:29], 1
.LBB13_5:                               ;   Parent Loop BB13_3 Depth=1
                                        ; =>  This Inner Loop Header: Depth=2
	global_load_b32 v12, v1, s[22:23]
	v_add_nc_u64_e32 v[10:11], s[28:29], v[10:11]
	s_delay_alu instid0(VALU_DEP_1)
	v_cmp_le_i64_e32 vcc_lo, s[26:27], v[10:11]
	s_or_b32 s44, vcc_lo, s44
	s_wait_loadcnt 0x0
	v_ashrrev_i32_e32 v14, 31, v12
	v_mul_lo_u32 v15, s11, v12
	v_mad_nc_u64_u32 v[12:13], s10, v12, v[8:9]
	v_add_nc_u64_e32 v[8:9], s[42:43], v[8:9]
	s_delay_alu instid0(VALU_DEP_4) | instskip(NEXT) | instid1(VALU_DEP_1)
	v_mul_lo_u32 v14, s10, v14
	v_add3_u32 v13, v14, v15, v13
	global_load_u16 v12, v[12:13], off
	s_wait_loadcnt 0x0
	s_wait_xcnt 0x0
	v_lshlrev_b32_e32 v12, 16, v12
	s_delay_alu instid0(VALU_DEP_1)
	v_cvt_i32_f32_e32 v12, v12
	global_store_b32 v[6:7], v12, off
	s_wait_xcnt 0x0
	v_add_nc_u64_e32 v[6:7], s[24:25], v[6:7]
	s_and_not1_b32 exec_lo, exec_lo, s44
	s_cbranch_execnz .LBB13_5
	s_branch .LBB13_2
.LBB13_6:
	s_endpgm
	.section	.rodata,"a",@progbits
	.p2align	6, 0x0
	.amdhsa_kernel _ZL16k_get_rows_floatI14__hip_bfloat16iEvPKT_PKiPT0_ll15HIP_vector_typeIjLj3EEmmmmmmmmm
		.amdhsa_group_segment_fixed_size 0
		.amdhsa_private_segment_fixed_size 0
		.amdhsa_kernarg_size 384
		.amdhsa_user_sgpr_count 2
		.amdhsa_user_sgpr_dispatch_ptr 0
		.amdhsa_user_sgpr_queue_ptr 0
		.amdhsa_user_sgpr_kernarg_segment_ptr 1
		.amdhsa_user_sgpr_dispatch_id 0
		.amdhsa_user_sgpr_kernarg_preload_length 0
		.amdhsa_user_sgpr_kernarg_preload_offset 0
		.amdhsa_user_sgpr_private_segment_size 0
		.amdhsa_wavefront_size32 1
		.amdhsa_uses_dynamic_stack 0
		.amdhsa_enable_private_segment 0
		.amdhsa_system_sgpr_workgroup_id_x 1
		.amdhsa_system_sgpr_workgroup_id_y 1
		.amdhsa_system_sgpr_workgroup_id_z 1
		.amdhsa_system_sgpr_workgroup_info 0
		.amdhsa_system_vgpr_workitem_id 0
		.amdhsa_next_free_vgpr 16
		.amdhsa_next_free_sgpr 50
		.amdhsa_named_barrier_count 0
		.amdhsa_reserve_vcc 1
		.amdhsa_float_round_mode_32 0
		.amdhsa_float_round_mode_16_64 0
		.amdhsa_float_denorm_mode_32 3
		.amdhsa_float_denorm_mode_16_64 3
		.amdhsa_fp16_overflow 0
		.amdhsa_memory_ordered 1
		.amdhsa_forward_progress 1
		.amdhsa_inst_pref_size 5
		.amdhsa_round_robin_scheduling 0
		.amdhsa_exception_fp_ieee_invalid_op 0
		.amdhsa_exception_fp_denorm_src 0
		.amdhsa_exception_fp_ieee_div_zero 0
		.amdhsa_exception_fp_ieee_overflow 0
		.amdhsa_exception_fp_ieee_underflow 0
		.amdhsa_exception_fp_ieee_inexact 0
		.amdhsa_exception_int_div_zero 0
	.end_amdhsa_kernel
	.section	.text._ZL16k_get_rows_floatI14__hip_bfloat16iEvPKT_PKiPT0_ll15HIP_vector_typeIjLj3EEmmmmmmmmm,"axG",@progbits,_ZL16k_get_rows_floatI14__hip_bfloat16iEvPKT_PKiPT0_ll15HIP_vector_typeIjLj3EEmmmmmmmmm,comdat
.Lfunc_end13:
	.size	_ZL16k_get_rows_floatI14__hip_bfloat16iEvPKT_PKiPT0_ll15HIP_vector_typeIjLj3EEmmmmmmmmm, .Lfunc_end13-_ZL16k_get_rows_floatI14__hip_bfloat16iEvPKT_PKiPT0_ll15HIP_vector_typeIjLj3EEmmmmmmmmm
                                        ; -- End function
	.set _ZL16k_get_rows_floatI14__hip_bfloat16iEvPKT_PKiPT0_ll15HIP_vector_typeIjLj3EEmmmmmmmmm.num_vgpr, 16
	.set _ZL16k_get_rows_floatI14__hip_bfloat16iEvPKT_PKiPT0_ll15HIP_vector_typeIjLj3EEmmmmmmmmm.num_agpr, 0
	.set _ZL16k_get_rows_floatI14__hip_bfloat16iEvPKT_PKiPT0_ll15HIP_vector_typeIjLj3EEmmmmmmmmm.numbered_sgpr, 50
	.set _ZL16k_get_rows_floatI14__hip_bfloat16iEvPKT_PKiPT0_ll15HIP_vector_typeIjLj3EEmmmmmmmmm.num_named_barrier, 0
	.set _ZL16k_get_rows_floatI14__hip_bfloat16iEvPKT_PKiPT0_ll15HIP_vector_typeIjLj3EEmmmmmmmmm.private_seg_size, 0
	.set _ZL16k_get_rows_floatI14__hip_bfloat16iEvPKT_PKiPT0_ll15HIP_vector_typeIjLj3EEmmmmmmmmm.uses_vcc, 1
	.set _ZL16k_get_rows_floatI14__hip_bfloat16iEvPKT_PKiPT0_ll15HIP_vector_typeIjLj3EEmmmmmmmmm.uses_flat_scratch, 0
	.set _ZL16k_get_rows_floatI14__hip_bfloat16iEvPKT_PKiPT0_ll15HIP_vector_typeIjLj3EEmmmmmmmmm.has_dyn_sized_stack, 0
	.set _ZL16k_get_rows_floatI14__hip_bfloat16iEvPKT_PKiPT0_ll15HIP_vector_typeIjLj3EEmmmmmmmmm.has_recursion, 0
	.set _ZL16k_get_rows_floatI14__hip_bfloat16iEvPKT_PKiPT0_ll15HIP_vector_typeIjLj3EEmmmmmmmmm.has_indirect_call, 0
	.section	.AMDGPU.csdata,"",@progbits
; Kernel info:
; codeLenInByte = 640
; TotalNumSgprs: 52
; NumVgprs: 16
; ScratchSize: 0
; MemoryBound: 0
; FloatMode: 240
; IeeeMode: 1
; LDSByteSize: 0 bytes/workgroup (compile time only)
; SGPRBlocks: 0
; VGPRBlocks: 0
; NumSGPRsForWavesPerEU: 52
; NumVGPRsForWavesPerEU: 16
; NamedBarCnt: 0
; Occupancy: 16
; WaveLimiterHint : 1
; COMPUTE_PGM_RSRC2:SCRATCH_EN: 0
; COMPUTE_PGM_RSRC2:USER_SGPR: 2
; COMPUTE_PGM_RSRC2:TRAP_HANDLER: 0
; COMPUTE_PGM_RSRC2:TGID_X_EN: 1
; COMPUTE_PGM_RSRC2:TGID_Y_EN: 1
; COMPUTE_PGM_RSRC2:TGID_Z_EN: 1
; COMPUTE_PGM_RSRC2:TIDIG_COMP_CNT: 0
	.section	.text._ZL10k_get_rowsILi128ELi1EXadL_ZL15dequantize_q1_0PKvliR15HIP_vector_typeIfLj2EEEEiEvS1_PKiPT2_llS2_IjLj3EEmmmmmmmmm,"axG",@progbits,_ZL10k_get_rowsILi128ELi1EXadL_ZL15dequantize_q1_0PKvliR15HIP_vector_typeIfLj2EEEEiEvS1_PKiPT2_llS2_IjLj3EEmmmmmmmmm,comdat
	.globl	_ZL10k_get_rowsILi128ELi1EXadL_ZL15dequantize_q1_0PKvliR15HIP_vector_typeIfLj2EEEEiEvS1_PKiPT2_llS2_IjLj3EEmmmmmmmmm ; -- Begin function _ZL10k_get_rowsILi128ELi1EXadL_ZL15dequantize_q1_0PKvliR15HIP_vector_typeIfLj2EEEEiEvS1_PKiPT2_llS2_IjLj3EEmmmmmmmmm
	.p2align	8
	.type	_ZL10k_get_rowsILi128ELi1EXadL_ZL15dequantize_q1_0PKvliR15HIP_vector_typeIfLj2EEEEiEvS1_PKiPT2_llS2_IjLj3EEmmmmmmmmm,@function
_ZL10k_get_rowsILi128ELi1EXadL_ZL15dequantize_q1_0PKvliR15HIP_vector_typeIfLj2EEEEiEvS1_PKiPT2_llS2_IjLj3EEmmmmmmmmm: ; @_ZL10k_get_rowsILi128ELi1EXadL_ZL15dequantize_q1_0PKvliR15HIP_vector_typeIfLj2EEEEiEvS1_PKiPT2_llS2_IjLj3EEmmmmmmmmm
; %bb.0:
	s_clause 0x1
	s_load_b64 s[2:3], s[0:1], 0x2c
	s_load_b128 s[20:23], s[0:1], 0x18
	s_bfe_u32 s4, ttmp6, 0x40014
	s_lshr_b32 s6, ttmp7, 16
	s_add_co_i32 s4, s4, 1
	s_bfe_u32 s5, ttmp6, 0x40008
	s_mul_i32 s4, s6, s4
	s_mov_b32 s29, 0
	s_getreg_b32 s38, hwreg(HW_REG_IB_STS2, 6, 4)
	s_add_co_i32 s7, s5, s4
	s_cmp_eq_u32 s38, 0
	s_mov_b32 s5, s29
	s_cselect_b32 s28, s6, s7
	s_wait_kmcnt 0x0
	s_mov_b32 s4, s3
	s_delay_alu instid0(SALU_CYCLE_1) | instskip(NEXT) | instid1(SALU_CYCLE_1)
	s_mul_u64 s[22:23], s[22:23], s[4:5]
	v_cmp_le_i64_e64 s4, s[22:23], s[28:29]
	s_and_b32 vcc_lo, exec_lo, s4
	s_cbranch_vccnz .LBB14_6
; %bb.1:
	s_clause 0x5
	s_load_b64 s[30:31], s[0:1], 0x88
	s_load_b64 s[34:35], s[0:1], 0x78
	s_load_b128 s[24:27], s[0:1], 0x0
	s_load_b64 s[40:41], s[0:1], 0x10
	s_load_b32 s36, s[0:1], 0x28
	s_load_b512 s[4:19], s[0:1], 0x38
	s_bfe_u32 s39, ttmp6, 0x4000c
	s_bfe_u32 s43, ttmp6, 0x40010
	s_and_b32 s42, ttmp7, 0xffff
	s_add_co_i32 s39, s39, 1
	s_add_co_i32 s43, s43, 1
	s_and_b32 s33, ttmp6, 15
	s_bfe_u32 s44, ttmp6, 0x40004
	s_mul_i32 s39, ttmp9, s39
	s_mul_i32 s43, s42, s43
	s_add_co_i32 s39, s33, s39
	s_add_co_i32 s44, s44, s43
	s_mov_b32 s37, s29
	s_wait_kmcnt 0x0
	s_and_b32 s33, s31, 0xffff
	s_cmp_eq_u32 s38, 0
	s_cselect_b32 s31, s42, s44
	s_cselect_b32 s38, ttmp9, s39
	s_mul_i32 s31, s31, s33
	s_ashr_i32 s39, s38, 31
	v_add_lshl_u32 v0, s31, v0, 1
	v_mov_b32_e32 v1, 0
	s_mul_u64 s[42:43], s[16:17], s[38:39]
	s_add_nc_u64 s[16:17], s[0:1], 0x80
	s_lshl_b64 s[0:1], s[42:43], 2
	s_mul_u64 s[38:39], s[4:5], s[38:39]
	s_add_nc_u64 s[4:5], s[26:27], s[0:1]
	v_mov_b32_e32 v7, v0
	v_mov_b64_e32 v[2:3], v[0:1]
	v_cmp_gt_i64_e64 s0, s[20:21], v[0:1]
	v_lshlrev_b64_e32 v[4:5], 25, v[0:1]
	v_mov_b32_e32 v6, v1
	s_lshl_b64 s[38:39], s[38:39], 2
	s_mov_b64 s[26:27], 0xffffffff
	s_add_nc_u64 s[38:39], s[40:41], s[38:39]
	s_mov_b32 s31, s29
	s_mov_b64 s[40:41], s[28:29]
	s_branch .LBB14_3
.LBB14_2:                               ;   in Loop: Header=BB14_3 Depth=1
	s_or_b32 exec_lo, exec_lo, s1
	s_add_nc_u64 s[40:41], s[40:41], s[30:31]
	s_delay_alu instid0(SALU_CYCLE_1)
	v_cmp_ge_i64_e64 s1, s[40:41], s[22:23]
	s_and_b32 vcc_lo, exec_lo, s1
	s_cbranch_vccnz .LBB14_6
.LBB14_3:                               ; =>This Loop Header: Depth=1
                                        ;     Child Loop BB14_5 Depth 2
	s_and_saveexec_b32 s1, s0
	s_cbranch_execz .LBB14_2
; %bb.4:                                ;   in Loop: Header=BB14_3 Depth=1
	s_and_b64 s[42:43], s[40:41], s[26:27]
	v_mov_b64_e32 v[8:9], v[6:7]
	s_mul_u64 s[42:43], s[42:43], s[36:37]
	v_mov_b64_e32 v[10:11], v[4:5]
	s_add_co_i32 s28, s43, s40
	v_mov_b64_e32 v[12:13], v[2:3]
	s_lshr_b32 s44, s28, s2
	s_delay_alu instid0(SALU_CYCLE_1)
	s_mul_i32 s28, s44, s3
	s_ashr_i32 s45, s44, 31
	s_sub_co_i32 s46, s40, s28
	s_mul_u64 s[42:43], s[18:19], s[44:45]
	s_ashr_i32 s47, s46, 31
	s_lshl_b64 s[42:43], s[42:43], 2
	s_mul_u64 s[48:49], s[34:35], s[46:47]
	s_add_nc_u64 s[42:43], s[4:5], s[42:43]
	s_lshl_b64 s[48:49], s[48:49], 2
	s_mul_u64 s[50:51], s[6:7], s[44:45]
	s_add_nc_u64 s[42:43], s[42:43], s[48:49]
	s_lshl_b64 s[50:51], s[50:51], 2
	s_load_b32 s48, s[42:43], 0x0
	s_load_b32 s28, s[16:17], 0x4
	s_mul_u64 s[52:53], s[12:13], s[44:45]
	s_add_nc_u64 s[44:45], s[38:39], s[50:51]
	s_mul_u64 s[50:51], s[8:9], s[46:47]
	s_mul_u64 s[54:55], s[14:15], s[46:47]
	s_lshl_b64 s[46:47], s[50:51], 2
	s_wait_xcnt 0x0
	s_mov_b32 s42, 0
	s_add_nc_u64 s[44:45], s[44:45], s[46:47]
	s_mov_b32 s50, s42
	s_wait_kmcnt 0x0
	s_ashr_i32 s49, s48, 31
	s_mul_i32 s28, s28, s33
	s_mul_u64 s[46:47], s[10:11], s[48:49]
	s_mov_b32 s43, s28
	s_add_nc_u64 s[48:49], s[24:25], s[46:47]
	s_lshl_b64 s[46:47], s[28:29], 25
	s_add_nc_u64 s[48:49], s[48:49], s[52:53]
	s_delay_alu instid0(SALU_CYCLE_1)
	s_add_nc_u64 s[48:49], s[48:49], s[54:55]
.LBB14_5:                               ;   Parent Loop BB14_3 Depth=1
                                        ; =>  This Inner Loop Header: Depth=2
	v_and_b32_e32 v0, 0x7f, v12
	v_mad_nc_i64_i32 v[14:15], v11, 18, s[48:49]
	v_add_nc_u64_e32 v[10:11], s[46:47], v[10:11]
	s_delay_alu instid0(VALU_DEP_3) | instskip(SKIP_1) | instid1(VALU_DEP_2)
	v_dual_mov_b32 v17, v1 :: v_dual_add_nc_u32 v20, 1, v0
	v_bfe_u32 v0, v12, 3, 4
	v_lshrrev_b32_e32 v16, 3, v20
	s_delay_alu instid0(VALU_DEP_2) | instskip(NEXT) | instid1(VALU_DEP_2)
	v_add_nc_u64_e32 v[18:19], v[14:15], v[0:1]
	v_add_nc_u64_e32 v[16:17], v[14:15], v[16:17]
	s_clause 0x2
	global_load_u16 v0, v[14:15], off
	global_load_u8 v21, v[18:19], off offset:2
	global_load_u8 v22, v[16:17], off offset:2
	s_wait_xcnt 0x2
	v_and_b32_e32 v15, 7, v20
	v_and_b32_e32 v14, 7, v12
	v_add_nc_u64_e32 v[12:13], s[28:29], v[12:13]
	s_delay_alu instid0(VALU_DEP_1)
	v_cmp_le_i64_e32 vcc_lo, s[20:21], v[12:13]
	s_or_b32 s50, vcc_lo, s50
	s_wait_loadcnt 0x2
	v_cvt_f32_f16_e32 v0, v0
	s_wait_loadcnt 0x0
	v_dual_lshrrev_b32 v15, v15, v22 :: v_dual_lshrrev_b32 v14, v14, v21
	s_delay_alu instid0(VALU_DEP_1) | instskip(NEXT) | instid1(VALU_DEP_1)
	v_dual_lshlrev_b32 v15, 1, v15 :: v_dual_lshlrev_b32 v14, 1, v14
	v_and_b32_e32 v15, 2, v15
	s_delay_alu instid0(VALU_DEP_1) | instskip(NEXT) | instid1(VALU_DEP_1)
	v_dual_add_nc_u32 v15, -1, v15 :: v_dual_bitop2_b32 v14, 2, v14 bitop3:0x40
	v_add_nc_u32_e32 v14, -1, v14
	s_wait_xcnt 0x0
	s_delay_alu instid0(VALU_DEP_2) | instskip(NEXT) | instid1(VALU_DEP_2)
	v_cvt_f32_i32_e32 v17, v15
	v_cvt_f32_i32_e32 v16, v14
	v_ashrrev_i64 v[14:15], 30, v[8:9]
	v_add_nc_u64_e32 v[8:9], s[42:43], v[8:9]
	s_delay_alu instid0(VALU_DEP_3) | instskip(NEXT) | instid1(VALU_DEP_3)
	v_dual_mul_f32 v16, v0, v16 :: v_dual_mul_f32 v0, v0, v17
	v_add_nc_u64_e32 v[14:15], s[44:45], v[14:15]
	s_delay_alu instid0(VALU_DEP_2) | instskip(NEXT) | instid1(VALU_DEP_3)
	v_cvt_i32_f32_e32 v16, v16
	v_cvt_i32_f32_e32 v17, v0
	global_store_b64 v[14:15], v[16:17], off
	s_wait_xcnt 0x0
	s_and_not1_b32 exec_lo, exec_lo, s50
	s_cbranch_execnz .LBB14_5
	s_branch .LBB14_2
.LBB14_6:
	s_endpgm
	.section	.rodata,"a",@progbits
	.p2align	6, 0x0
	.amdhsa_kernel _ZL10k_get_rowsILi128ELi1EXadL_ZL15dequantize_q1_0PKvliR15HIP_vector_typeIfLj2EEEEiEvS1_PKiPT2_llS2_IjLj3EEmmmmmmmmm
		.amdhsa_group_segment_fixed_size 0
		.amdhsa_private_segment_fixed_size 0
		.amdhsa_kernarg_size 384
		.amdhsa_user_sgpr_count 2
		.amdhsa_user_sgpr_dispatch_ptr 0
		.amdhsa_user_sgpr_queue_ptr 0
		.amdhsa_user_sgpr_kernarg_segment_ptr 1
		.amdhsa_user_sgpr_dispatch_id 0
		.amdhsa_user_sgpr_kernarg_preload_length 0
		.amdhsa_user_sgpr_kernarg_preload_offset 0
		.amdhsa_user_sgpr_private_segment_size 0
		.amdhsa_wavefront_size32 1
		.amdhsa_uses_dynamic_stack 0
		.amdhsa_enable_private_segment 0
		.amdhsa_system_sgpr_workgroup_id_x 1
		.amdhsa_system_sgpr_workgroup_id_y 1
		.amdhsa_system_sgpr_workgroup_id_z 1
		.amdhsa_system_sgpr_workgroup_info 0
		.amdhsa_system_vgpr_workitem_id 0
		.amdhsa_next_free_vgpr 23
		.amdhsa_next_free_sgpr 56
		.amdhsa_named_barrier_count 0
		.amdhsa_reserve_vcc 1
		.amdhsa_float_round_mode_32 0
		.amdhsa_float_round_mode_16_64 0
		.amdhsa_float_denorm_mode_32 3
		.amdhsa_float_denorm_mode_16_64 3
		.amdhsa_fp16_overflow 0
		.amdhsa_memory_ordered 1
		.amdhsa_forward_progress 1
		.amdhsa_inst_pref_size 7
		.amdhsa_round_robin_scheduling 0
		.amdhsa_exception_fp_ieee_invalid_op 0
		.amdhsa_exception_fp_denorm_src 0
		.amdhsa_exception_fp_ieee_div_zero 0
		.amdhsa_exception_fp_ieee_overflow 0
		.amdhsa_exception_fp_ieee_underflow 0
		.amdhsa_exception_fp_ieee_inexact 0
		.amdhsa_exception_int_div_zero 0
	.end_amdhsa_kernel
	.section	.text._ZL10k_get_rowsILi128ELi1EXadL_ZL15dequantize_q1_0PKvliR15HIP_vector_typeIfLj2EEEEiEvS1_PKiPT2_llS2_IjLj3EEmmmmmmmmm,"axG",@progbits,_ZL10k_get_rowsILi128ELi1EXadL_ZL15dequantize_q1_0PKvliR15HIP_vector_typeIfLj2EEEEiEvS1_PKiPT2_llS2_IjLj3EEmmmmmmmmm,comdat
.Lfunc_end14:
	.size	_ZL10k_get_rowsILi128ELi1EXadL_ZL15dequantize_q1_0PKvliR15HIP_vector_typeIfLj2EEEEiEvS1_PKiPT2_llS2_IjLj3EEmmmmmmmmm, .Lfunc_end14-_ZL10k_get_rowsILi128ELi1EXadL_ZL15dequantize_q1_0PKvliR15HIP_vector_typeIfLj2EEEEiEvS1_PKiPT2_llS2_IjLj3EEmmmmmmmmm
                                        ; -- End function
	.set _ZL10k_get_rowsILi128ELi1EXadL_ZL15dequantize_q1_0PKvliR15HIP_vector_typeIfLj2EEEEiEvS1_PKiPT2_llS2_IjLj3EEmmmmmmmmm.num_vgpr, 23
	.set _ZL10k_get_rowsILi128ELi1EXadL_ZL15dequantize_q1_0PKvliR15HIP_vector_typeIfLj2EEEEiEvS1_PKiPT2_llS2_IjLj3EEmmmmmmmmm.num_agpr, 0
	.set _ZL10k_get_rowsILi128ELi1EXadL_ZL15dequantize_q1_0PKvliR15HIP_vector_typeIfLj2EEEEiEvS1_PKiPT2_llS2_IjLj3EEmmmmmmmmm.numbered_sgpr, 56
	.set _ZL10k_get_rowsILi128ELi1EXadL_ZL15dequantize_q1_0PKvliR15HIP_vector_typeIfLj2EEEEiEvS1_PKiPT2_llS2_IjLj3EEmmmmmmmmm.num_named_barrier, 0
	.set _ZL10k_get_rowsILi128ELi1EXadL_ZL15dequantize_q1_0PKvliR15HIP_vector_typeIfLj2EEEEiEvS1_PKiPT2_llS2_IjLj3EEmmmmmmmmm.private_seg_size, 0
	.set _ZL10k_get_rowsILi128ELi1EXadL_ZL15dequantize_q1_0PKvliR15HIP_vector_typeIfLj2EEEEiEvS1_PKiPT2_llS2_IjLj3EEmmmmmmmmm.uses_vcc, 1
	.set _ZL10k_get_rowsILi128ELi1EXadL_ZL15dequantize_q1_0PKvliR15HIP_vector_typeIfLj2EEEEiEvS1_PKiPT2_llS2_IjLj3EEmmmmmmmmm.uses_flat_scratch, 0
	.set _ZL10k_get_rowsILi128ELi1EXadL_ZL15dequantize_q1_0PKvliR15HIP_vector_typeIfLj2EEEEiEvS1_PKiPT2_llS2_IjLj3EEmmmmmmmmm.has_dyn_sized_stack, 0
	.set _ZL10k_get_rowsILi128ELi1EXadL_ZL15dequantize_q1_0PKvliR15HIP_vector_typeIfLj2EEEEiEvS1_PKiPT2_llS2_IjLj3EEmmmmmmmmm.has_recursion, 0
	.set _ZL10k_get_rowsILi128ELi1EXadL_ZL15dequantize_q1_0PKvliR15HIP_vector_typeIfLj2EEEEiEvS1_PKiPT2_llS2_IjLj3EEmmmmmmmmm.has_indirect_call, 0
	.section	.AMDGPU.csdata,"",@progbits
; Kernel info:
; codeLenInByte = 828
; TotalNumSgprs: 58
; NumVgprs: 23
; ScratchSize: 0
; MemoryBound: 0
; FloatMode: 240
; IeeeMode: 1
; LDSByteSize: 0 bytes/workgroup (compile time only)
; SGPRBlocks: 0
; VGPRBlocks: 1
; NumSGPRsForWavesPerEU: 58
; NumVGPRsForWavesPerEU: 23
; NamedBarCnt: 0
; Occupancy: 16
; WaveLimiterHint : 1
; COMPUTE_PGM_RSRC2:SCRATCH_EN: 0
; COMPUTE_PGM_RSRC2:USER_SGPR: 2
; COMPUTE_PGM_RSRC2:TRAP_HANDLER: 0
; COMPUTE_PGM_RSRC2:TGID_X_EN: 1
; COMPUTE_PGM_RSRC2:TGID_Y_EN: 1
; COMPUTE_PGM_RSRC2:TGID_Z_EN: 1
; COMPUTE_PGM_RSRC2:TIDIG_COMP_CNT: 0
	.section	.text._ZL10k_get_rowsILi32ELi2EXadL_ZL15dequantize_q4_0PKvliR15HIP_vector_typeIfLj2EEEEiEvS1_PKiPT2_llS2_IjLj3EEmmmmmmmmm,"axG",@progbits,_ZL10k_get_rowsILi32ELi2EXadL_ZL15dequantize_q4_0PKvliR15HIP_vector_typeIfLj2EEEEiEvS1_PKiPT2_llS2_IjLj3EEmmmmmmmmm,comdat
	.globl	_ZL10k_get_rowsILi32ELi2EXadL_ZL15dequantize_q4_0PKvliR15HIP_vector_typeIfLj2EEEEiEvS1_PKiPT2_llS2_IjLj3EEmmmmmmmmm ; -- Begin function _ZL10k_get_rowsILi32ELi2EXadL_ZL15dequantize_q4_0PKvliR15HIP_vector_typeIfLj2EEEEiEvS1_PKiPT2_llS2_IjLj3EEmmmmmmmmm
	.p2align	8
	.type	_ZL10k_get_rowsILi32ELi2EXadL_ZL15dequantize_q4_0PKvliR15HIP_vector_typeIfLj2EEEEiEvS1_PKiPT2_llS2_IjLj3EEmmmmmmmmm,@function
_ZL10k_get_rowsILi32ELi2EXadL_ZL15dequantize_q4_0PKvliR15HIP_vector_typeIfLj2EEEEiEvS1_PKiPT2_llS2_IjLj3EEmmmmmmmmm: ; @_ZL10k_get_rowsILi32ELi2EXadL_ZL15dequantize_q4_0PKvliR15HIP_vector_typeIfLj2EEEEiEvS1_PKiPT2_llS2_IjLj3EEmmmmmmmmm
; %bb.0:
	s_clause 0x1
	s_load_b64 s[2:3], s[0:1], 0x2c
	s_load_b128 s[20:23], s[0:1], 0x18
	s_bfe_u32 s4, ttmp6, 0x40014
	s_lshr_b32 s6, ttmp7, 16
	s_add_co_i32 s4, s4, 1
	s_bfe_u32 s5, ttmp6, 0x40008
	s_mul_i32 s4, s6, s4
	s_mov_b32 s29, 0
	s_getreg_b32 s38, hwreg(HW_REG_IB_STS2, 6, 4)
	s_add_co_i32 s7, s5, s4
	s_cmp_eq_u32 s38, 0
	s_mov_b32 s5, s29
	s_cselect_b32 s28, s6, s7
	s_wait_kmcnt 0x0
	s_mov_b32 s4, s3
	s_delay_alu instid0(SALU_CYCLE_1) | instskip(NEXT) | instid1(SALU_CYCLE_1)
	s_mul_u64 s[22:23], s[22:23], s[4:5]
	v_cmp_le_i64_e64 s4, s[22:23], s[28:29]
	s_and_b32 vcc_lo, exec_lo, s4
	s_cbranch_vccnz .LBB15_6
; %bb.1:
	s_clause 0x5
	s_load_b64 s[30:31], s[0:1], 0x88
	s_load_b64 s[34:35], s[0:1], 0x78
	s_load_b128 s[24:27], s[0:1], 0x0
	s_load_b64 s[40:41], s[0:1], 0x10
	s_load_b32 s36, s[0:1], 0x28
	s_load_b512 s[4:19], s[0:1], 0x38
	s_bfe_u32 s39, ttmp6, 0x4000c
	s_bfe_u32 s43, ttmp6, 0x40010
	s_and_b32 s42, ttmp7, 0xffff
	s_add_co_i32 s39, s39, 1
	s_add_co_i32 s43, s43, 1
	s_and_b32 s33, ttmp6, 15
	s_bfe_u32 s44, ttmp6, 0x40004
	s_mul_i32 s39, ttmp9, s39
	s_mul_i32 s43, s42, s43
	s_add_co_i32 s39, s33, s39
	s_add_co_i32 s44, s44, s43
	v_mov_b32_e32 v1, 0
	s_mov_b32 s37, s29
	s_wait_kmcnt 0x0
	s_and_b32 s33, s31, 0xffff
	s_cmp_eq_u32 s38, 0
	s_cselect_b32 s31, s42, s44
	s_cselect_b32 s42, ttmp9, s39
	s_mul_i32 s31, s31, s33
	s_ashr_i32 s43, s42, 31
	v_add_lshl_u32 v0, s31, v0, 1
	s_add_nc_u64 s[38:39], s[0:1], 0x80
	s_mul_u64 s[0:1], s[16:17], s[42:43]
	s_mul_u64 s[16:17], s[4:5], s[42:43]
	s_lshl_b64 s[42:43], s[0:1], 2
	v_mov_b64_e32 v[2:3], v[0:1]
	v_cmp_gt_i64_e64 s0, s[20:21], v[0:1]
	v_lshlrev_b64_e32 v[4:5], 27, v[0:1]
	s_lshl_b64 s[44:45], s[16:17], 2
	s_mov_b64 s[4:5], 0xffffffff
	s_add_nc_u64 s[16:17], s[26:27], s[42:43]
	s_add_nc_u64 s[26:27], s[40:41], s[44:45]
	s_mov_b32 s31, s29
	s_mov_b64 s[40:41], s[28:29]
	s_branch .LBB15_3
.LBB15_2:                               ;   in Loop: Header=BB15_3 Depth=1
	s_or_b32 exec_lo, exec_lo, s1
	s_add_nc_u64 s[40:41], s[40:41], s[30:31]
	s_delay_alu instid0(SALU_CYCLE_1)
	v_cmp_ge_i64_e64 s1, s[40:41], s[22:23]
	s_and_b32 vcc_lo, exec_lo, s1
	s_cbranch_vccnz .LBB15_6
.LBB15_3:                               ; =>This Loop Header: Depth=1
                                        ;     Child Loop BB15_5 Depth 2
	s_and_saveexec_b32 s1, s0
	s_cbranch_execz .LBB15_2
; %bb.4:                                ;   in Loop: Header=BB15_3 Depth=1
	s_and_b64 s[42:43], s[40:41], s[4:5]
	v_mov_b64_e32 v[6:7], v[4:5]
	s_mul_u64 s[42:43], s[42:43], s[36:37]
	v_mov_b64_e32 v[8:9], v[2:3]
	s_add_co_i32 s28, s43, s40
	s_delay_alu instid0(SALU_CYCLE_1) | instskip(NEXT) | instid1(SALU_CYCLE_1)
	s_lshr_b32 s42, s28, s2
	s_mul_i32 s28, s42, s3
	s_ashr_i32 s43, s42, 31
	s_sub_co_i32 s44, s40, s28
	s_mul_u64 s[46:47], s[18:19], s[42:43]
	s_ashr_i32 s45, s44, 31
	s_lshl_b64 s[46:47], s[46:47], 2
	s_mul_u64 s[48:49], s[34:35], s[44:45]
	s_add_nc_u64 s[46:47], s[16:17], s[46:47]
	s_lshl_b64 s[48:49], s[48:49], 2
	s_mul_u64 s[50:51], s[12:13], s[42:43]
	s_add_nc_u64 s[46:47], s[46:47], s[48:49]
	s_mul_u64 s[52:53], s[14:15], s[44:45]
	s_load_b32 s48, s[46:47], 0x0
	s_load_b32 s28, s[38:39], 0x4
	s_wait_xcnt 0x0
	s_mul_u64 s[46:47], s[6:7], s[42:43]
	s_delay_alu instid0(SALU_CYCLE_1) | instskip(NEXT) | instid1(SALU_CYCLE_1)
	s_lshl_b64 s[46:47], s[46:47], 2
	s_add_nc_u64 s[42:43], s[26:27], s[46:47]
	s_mul_u64 s[46:47], s[8:9], s[44:45]
	s_delay_alu instid0(SALU_CYCLE_1) | instskip(NEXT) | instid1(SALU_CYCLE_1)
	s_lshl_b64 s[44:45], s[46:47], 2
	s_add_nc_u64 s[42:43], s[42:43], s[44:45]
	s_wait_kmcnt 0x0
	s_ashr_i32 s49, s48, 31
	s_mul_i32 s28, s28, s33
	s_mul_u64 s[46:47], s[10:11], s[48:49]
	s_mov_b32 s48, 0
	s_add_nc_u64 s[44:45], s[24:25], s[46:47]
	s_delay_alu instid0(SALU_CYCLE_1)
	s_add_nc_u64 s[46:47], s[44:45], s[50:51]
	s_lshl_b64 s[44:45], s[28:29], 27
	s_add_nc_u64 s[46:47], s[46:47], s[52:53]
.LBB15_5:                               ;   Parent Loop BB15_3 Depth=1
                                        ; =>  This Inner Loop Header: Depth=2
	s_delay_alu instid0(SALU_CYCLE_1) | instskip(SKIP_2) | instid1(VALU_DEP_2)
	v_mad_nc_i64_i32 v[10:11], v7, 18, s[46:47]
	v_bfe_u32 v0, v8, 1, 4
	v_add_nc_u64_e32 v[6:7], s[44:45], v[6:7]
	v_add_nc_u64_e32 v[12:13], v[10:11], v[0:1]
	v_and_or_b32 v0, 0xffffffe0, v8, v0
	v_add_nc_u64_e32 v[8:9], s[28:29], v[8:9]
	s_clause 0x1
	global_load_u16 v14, v[10:11], off
	global_load_u8 v15, v[12:13], off offset:2
	v_cmp_le_i64_e32 vcc_lo, s[20:21], v[8:9]
	s_or_b32 s48, vcc_lo, s48
	s_wait_loadcnt 0x1
	s_wait_xcnt 0x0
	v_cvt_f32_f16_e32 v12, v14
	s_wait_loadcnt 0x0
	v_dual_lshrrev_b32 v11, 4, v15 :: v_dual_bitop2_b32 v10, 15, v15 bitop3:0x40
	s_delay_alu instid0(VALU_DEP_1) | instskip(NEXT) | instid1(VALU_DEP_1)
	v_dual_add_nc_u32 v10, -8, v10 :: v_dual_add_nc_u32 v11, -8, v11
	v_cvt_f32_i32_e32 v10, v10
	s_delay_alu instid0(VALU_DEP_2) | instskip(NEXT) | instid1(VALU_DEP_1)
	v_cvt_f32_i32_e32 v11, v11
	v_dual_mul_f32 v10, v12, v10 :: v_dual_mul_f32 v11, v12, v11
	s_delay_alu instid0(VALU_DEP_1) | instskip(NEXT) | instid1(VALU_DEP_2)
	v_cvt_i32_f32_e32 v10, v10
	v_cvt_i32_f32_e32 v11, v11
	s_clause 0x1
	global_store_b32 v0, v10, s[42:43] scale_offset
	global_store_b32 v0, v11, s[42:43] offset:64 scale_offset
	s_wait_xcnt 0x0
	s_and_not1_b32 exec_lo, exec_lo, s48
	s_cbranch_execnz .LBB15_5
	s_branch .LBB15_2
.LBB15_6:
	s_endpgm
	.section	.rodata,"a",@progbits
	.p2align	6, 0x0
	.amdhsa_kernel _ZL10k_get_rowsILi32ELi2EXadL_ZL15dequantize_q4_0PKvliR15HIP_vector_typeIfLj2EEEEiEvS1_PKiPT2_llS2_IjLj3EEmmmmmmmmm
		.amdhsa_group_segment_fixed_size 0
		.amdhsa_private_segment_fixed_size 0
		.amdhsa_kernarg_size 384
		.amdhsa_user_sgpr_count 2
		.amdhsa_user_sgpr_dispatch_ptr 0
		.amdhsa_user_sgpr_queue_ptr 0
		.amdhsa_user_sgpr_kernarg_segment_ptr 1
		.amdhsa_user_sgpr_dispatch_id 0
		.amdhsa_user_sgpr_kernarg_preload_length 0
		.amdhsa_user_sgpr_kernarg_preload_offset 0
		.amdhsa_user_sgpr_private_segment_size 0
		.amdhsa_wavefront_size32 1
		.amdhsa_uses_dynamic_stack 0
		.amdhsa_enable_private_segment 0
		.amdhsa_system_sgpr_workgroup_id_x 1
		.amdhsa_system_sgpr_workgroup_id_y 1
		.amdhsa_system_sgpr_workgroup_id_z 1
		.amdhsa_system_sgpr_workgroup_info 0
		.amdhsa_system_vgpr_workitem_id 0
		.amdhsa_next_free_vgpr 16
		.amdhsa_next_free_sgpr 54
		.amdhsa_named_barrier_count 0
		.amdhsa_reserve_vcc 1
		.amdhsa_float_round_mode_32 0
		.amdhsa_float_round_mode_16_64 0
		.amdhsa_float_denorm_mode_32 3
		.amdhsa_float_denorm_mode_16_64 3
		.amdhsa_fp16_overflow 0
		.amdhsa_memory_ordered 1
		.amdhsa_forward_progress 1
		.amdhsa_inst_pref_size 6
		.amdhsa_round_robin_scheduling 0
		.amdhsa_exception_fp_ieee_invalid_op 0
		.amdhsa_exception_fp_denorm_src 0
		.amdhsa_exception_fp_ieee_div_zero 0
		.amdhsa_exception_fp_ieee_overflow 0
		.amdhsa_exception_fp_ieee_underflow 0
		.amdhsa_exception_fp_ieee_inexact 0
		.amdhsa_exception_int_div_zero 0
	.end_amdhsa_kernel
	.section	.text._ZL10k_get_rowsILi32ELi2EXadL_ZL15dequantize_q4_0PKvliR15HIP_vector_typeIfLj2EEEEiEvS1_PKiPT2_llS2_IjLj3EEmmmmmmmmm,"axG",@progbits,_ZL10k_get_rowsILi32ELi2EXadL_ZL15dequantize_q4_0PKvliR15HIP_vector_typeIfLj2EEEEiEvS1_PKiPT2_llS2_IjLj3EEmmmmmmmmm,comdat
.Lfunc_end15:
	.size	_ZL10k_get_rowsILi32ELi2EXadL_ZL15dequantize_q4_0PKvliR15HIP_vector_typeIfLj2EEEEiEvS1_PKiPT2_llS2_IjLj3EEmmmmmmmmm, .Lfunc_end15-_ZL10k_get_rowsILi32ELi2EXadL_ZL15dequantize_q4_0PKvliR15HIP_vector_typeIfLj2EEEEiEvS1_PKiPT2_llS2_IjLj3EEmmmmmmmmm
                                        ; -- End function
	.set _ZL10k_get_rowsILi32ELi2EXadL_ZL15dequantize_q4_0PKvliR15HIP_vector_typeIfLj2EEEEiEvS1_PKiPT2_llS2_IjLj3EEmmmmmmmmm.num_vgpr, 16
	.set _ZL10k_get_rowsILi32ELi2EXadL_ZL15dequantize_q4_0PKvliR15HIP_vector_typeIfLj2EEEEiEvS1_PKiPT2_llS2_IjLj3EEmmmmmmmmm.num_agpr, 0
	.set _ZL10k_get_rowsILi32ELi2EXadL_ZL15dequantize_q4_0PKvliR15HIP_vector_typeIfLj2EEEEiEvS1_PKiPT2_llS2_IjLj3EEmmmmmmmmm.numbered_sgpr, 54
	.set _ZL10k_get_rowsILi32ELi2EXadL_ZL15dequantize_q4_0PKvliR15HIP_vector_typeIfLj2EEEEiEvS1_PKiPT2_llS2_IjLj3EEmmmmmmmmm.num_named_barrier, 0
	.set _ZL10k_get_rowsILi32ELi2EXadL_ZL15dequantize_q4_0PKvliR15HIP_vector_typeIfLj2EEEEiEvS1_PKiPT2_llS2_IjLj3EEmmmmmmmmm.private_seg_size, 0
	.set _ZL10k_get_rowsILi32ELi2EXadL_ZL15dequantize_q4_0PKvliR15HIP_vector_typeIfLj2EEEEiEvS1_PKiPT2_llS2_IjLj3EEmmmmmmmmm.uses_vcc, 1
	.set _ZL10k_get_rowsILi32ELi2EXadL_ZL15dequantize_q4_0PKvliR15HIP_vector_typeIfLj2EEEEiEvS1_PKiPT2_llS2_IjLj3EEmmmmmmmmm.uses_flat_scratch, 0
	.set _ZL10k_get_rowsILi32ELi2EXadL_ZL15dequantize_q4_0PKvliR15HIP_vector_typeIfLj2EEEEiEvS1_PKiPT2_llS2_IjLj3EEmmmmmmmmm.has_dyn_sized_stack, 0
	.set _ZL10k_get_rowsILi32ELi2EXadL_ZL15dequantize_q4_0PKvliR15HIP_vector_typeIfLj2EEEEiEvS1_PKiPT2_llS2_IjLj3EEmmmmmmmmm.has_recursion, 0
	.set _ZL10k_get_rowsILi32ELi2EXadL_ZL15dequantize_q4_0PKvliR15HIP_vector_typeIfLj2EEEEiEvS1_PKiPT2_llS2_IjLj3EEmmmmmmmmm.has_indirect_call, 0
	.section	.AMDGPU.csdata,"",@progbits
; Kernel info:
; codeLenInByte = 740
; TotalNumSgprs: 56
; NumVgprs: 16
; ScratchSize: 0
; MemoryBound: 0
; FloatMode: 240
; IeeeMode: 1
; LDSByteSize: 0 bytes/workgroup (compile time only)
; SGPRBlocks: 0
; VGPRBlocks: 0
; NumSGPRsForWavesPerEU: 56
; NumVGPRsForWavesPerEU: 16
; NamedBarCnt: 0
; Occupancy: 16
; WaveLimiterHint : 1
; COMPUTE_PGM_RSRC2:SCRATCH_EN: 0
; COMPUTE_PGM_RSRC2:USER_SGPR: 2
; COMPUTE_PGM_RSRC2:TRAP_HANDLER: 0
; COMPUTE_PGM_RSRC2:TGID_X_EN: 1
; COMPUTE_PGM_RSRC2:TGID_Y_EN: 1
; COMPUTE_PGM_RSRC2:TGID_Z_EN: 1
; COMPUTE_PGM_RSRC2:TIDIG_COMP_CNT: 0
	.section	.text._ZL10k_get_rowsILi32ELi2EXadL_ZL15dequantize_q4_1PKvliR15HIP_vector_typeIfLj2EEEEiEvS1_PKiPT2_llS2_IjLj3EEmmmmmmmmm,"axG",@progbits,_ZL10k_get_rowsILi32ELi2EXadL_ZL15dequantize_q4_1PKvliR15HIP_vector_typeIfLj2EEEEiEvS1_PKiPT2_llS2_IjLj3EEmmmmmmmmm,comdat
	.globl	_ZL10k_get_rowsILi32ELi2EXadL_ZL15dequantize_q4_1PKvliR15HIP_vector_typeIfLj2EEEEiEvS1_PKiPT2_llS2_IjLj3EEmmmmmmmmm ; -- Begin function _ZL10k_get_rowsILi32ELi2EXadL_ZL15dequantize_q4_1PKvliR15HIP_vector_typeIfLj2EEEEiEvS1_PKiPT2_llS2_IjLj3EEmmmmmmmmm
	.p2align	8
	.type	_ZL10k_get_rowsILi32ELi2EXadL_ZL15dequantize_q4_1PKvliR15HIP_vector_typeIfLj2EEEEiEvS1_PKiPT2_llS2_IjLj3EEmmmmmmmmm,@function
_ZL10k_get_rowsILi32ELi2EXadL_ZL15dequantize_q4_1PKvliR15HIP_vector_typeIfLj2EEEEiEvS1_PKiPT2_llS2_IjLj3EEmmmmmmmmm: ; @_ZL10k_get_rowsILi32ELi2EXadL_ZL15dequantize_q4_1PKvliR15HIP_vector_typeIfLj2EEEEiEvS1_PKiPT2_llS2_IjLj3EEmmmmmmmmm
; %bb.0:
	s_clause 0x1
	s_load_b64 s[2:3], s[0:1], 0x2c
	s_load_b128 s[20:23], s[0:1], 0x18
	s_bfe_u32 s4, ttmp6, 0x40014
	s_lshr_b32 s6, ttmp7, 16
	s_add_co_i32 s4, s4, 1
	s_bfe_u32 s5, ttmp6, 0x40008
	s_mul_i32 s4, s6, s4
	s_mov_b32 s29, 0
	s_getreg_b32 s38, hwreg(HW_REG_IB_STS2, 6, 4)
	s_add_co_i32 s7, s5, s4
	s_cmp_eq_u32 s38, 0
	s_mov_b32 s5, s29
	s_cselect_b32 s28, s6, s7
	s_wait_kmcnt 0x0
	s_mov_b32 s4, s3
	s_delay_alu instid0(SALU_CYCLE_1) | instskip(NEXT) | instid1(SALU_CYCLE_1)
	s_mul_u64 s[22:23], s[22:23], s[4:5]
	v_cmp_le_i64_e64 s4, s[22:23], s[28:29]
	s_and_b32 vcc_lo, exec_lo, s4
	s_cbranch_vccnz .LBB16_6
; %bb.1:
	s_clause 0x5
	s_load_b64 s[30:31], s[0:1], 0x88
	s_load_b64 s[34:35], s[0:1], 0x78
	s_load_b128 s[24:27], s[0:1], 0x0
	s_load_b64 s[40:41], s[0:1], 0x10
	s_load_b32 s36, s[0:1], 0x28
	s_load_b512 s[4:19], s[0:1], 0x38
	s_bfe_u32 s39, ttmp6, 0x4000c
	s_bfe_u32 s43, ttmp6, 0x40010
	s_and_b32 s42, ttmp7, 0xffff
	s_add_co_i32 s39, s39, 1
	s_add_co_i32 s43, s43, 1
	s_and_b32 s33, ttmp6, 15
	s_bfe_u32 s44, ttmp6, 0x40004
	s_mul_i32 s39, ttmp9, s39
	s_mul_i32 s43, s42, s43
	s_add_co_i32 s39, s33, s39
	s_add_co_i32 s44, s44, s43
	v_mov_b32_e32 v1, 0
	s_mov_b32 s37, s29
	s_wait_kmcnt 0x0
	s_and_b32 s33, s31, 0xffff
	s_cmp_eq_u32 s38, 0
	s_cselect_b32 s31, s42, s44
	s_cselect_b32 s42, ttmp9, s39
	s_mul_i32 s31, s31, s33
	s_ashr_i32 s43, s42, 31
	v_add_lshl_u32 v0, s31, v0, 1
	s_add_nc_u64 s[38:39], s[0:1], 0x80
	s_mul_u64 s[0:1], s[16:17], s[42:43]
	s_mul_u64 s[16:17], s[4:5], s[42:43]
	s_lshl_b64 s[42:43], s[0:1], 2
	v_mov_b64_e32 v[2:3], v[0:1]
	v_cmp_gt_i64_e64 s0, s[20:21], v[0:1]
	v_lshlrev_b64_e32 v[4:5], 27, v[0:1]
	s_lshl_b64 s[44:45], s[16:17], 2
	s_mov_b64 s[4:5], 0xffffffff
	s_add_nc_u64 s[16:17], s[26:27], s[42:43]
	s_add_nc_u64 s[26:27], s[40:41], s[44:45]
	s_mov_b32 s31, s29
	s_mov_b64 s[40:41], s[28:29]
	s_branch .LBB16_3
.LBB16_2:                               ;   in Loop: Header=BB16_3 Depth=1
	s_or_b32 exec_lo, exec_lo, s1
	s_add_nc_u64 s[40:41], s[40:41], s[30:31]
	s_delay_alu instid0(SALU_CYCLE_1)
	v_cmp_ge_i64_e64 s1, s[40:41], s[22:23]
	s_and_b32 vcc_lo, exec_lo, s1
	s_cbranch_vccnz .LBB16_6
.LBB16_3:                               ; =>This Loop Header: Depth=1
                                        ;     Child Loop BB16_5 Depth 2
	s_and_saveexec_b32 s1, s0
	s_cbranch_execz .LBB16_2
; %bb.4:                                ;   in Loop: Header=BB16_3 Depth=1
	s_and_b64 s[42:43], s[40:41], s[4:5]
	v_mov_b64_e32 v[6:7], v[4:5]
	s_mul_u64 s[42:43], s[42:43], s[36:37]
	v_mov_b64_e32 v[8:9], v[2:3]
	s_add_co_i32 s28, s43, s40
	s_delay_alu instid0(SALU_CYCLE_1) | instskip(NEXT) | instid1(SALU_CYCLE_1)
	s_lshr_b32 s42, s28, s2
	s_mul_i32 s28, s42, s3
	s_ashr_i32 s43, s42, 31
	s_sub_co_i32 s44, s40, s28
	s_mul_u64 s[46:47], s[18:19], s[42:43]
	s_ashr_i32 s45, s44, 31
	s_lshl_b64 s[46:47], s[46:47], 2
	s_mul_u64 s[48:49], s[34:35], s[44:45]
	s_add_nc_u64 s[46:47], s[16:17], s[46:47]
	s_lshl_b64 s[48:49], s[48:49], 2
	s_mul_u64 s[50:51], s[12:13], s[42:43]
	s_add_nc_u64 s[46:47], s[46:47], s[48:49]
	s_mul_u64 s[52:53], s[14:15], s[44:45]
	s_load_b32 s48, s[46:47], 0x0
	s_load_b32 s28, s[38:39], 0x4
	s_wait_xcnt 0x0
	s_mul_u64 s[46:47], s[6:7], s[42:43]
	s_delay_alu instid0(SALU_CYCLE_1) | instskip(NEXT) | instid1(SALU_CYCLE_1)
	s_lshl_b64 s[46:47], s[46:47], 2
	s_add_nc_u64 s[42:43], s[26:27], s[46:47]
	s_mul_u64 s[46:47], s[8:9], s[44:45]
	s_delay_alu instid0(SALU_CYCLE_1) | instskip(NEXT) | instid1(SALU_CYCLE_1)
	s_lshl_b64 s[44:45], s[46:47], 2
	s_add_nc_u64 s[42:43], s[42:43], s[44:45]
	s_wait_kmcnt 0x0
	s_ashr_i32 s49, s48, 31
	s_mul_i32 s28, s28, s33
	s_mul_u64 s[46:47], s[10:11], s[48:49]
	s_mov_b32 s48, 0
	s_add_nc_u64 s[44:45], s[24:25], s[46:47]
	s_delay_alu instid0(SALU_CYCLE_1)
	s_add_nc_u64 s[46:47], s[44:45], s[50:51]
	s_lshl_b64 s[44:45], s[28:29], 27
	s_add_nc_u64 s[46:47], s[46:47], s[52:53]
.LBB16_5:                               ;   Parent Loop BB16_3 Depth=1
                                        ; =>  This Inner Loop Header: Depth=2
	s_delay_alu instid0(SALU_CYCLE_1) | instskip(SKIP_2) | instid1(VALU_DEP_2)
	v_mad_nc_i64_i32 v[10:11], v7, 20, s[46:47]
	v_bfe_u32 v0, v8, 1, 4
	v_add_nc_u64_e32 v[6:7], s[44:45], v[6:7]
	v_add_nc_u64_e32 v[12:13], v[10:11], v[0:1]
	v_and_or_b32 v0, 0xffffffe0, v8, v0
	v_add_nc_u64_e32 v[8:9], s[28:29], v[8:9]
	s_clause 0x1
	global_load_b32 v14, v[10:11], off
	global_load_u8 v15, v[12:13], off offset:4
	v_cmp_le_i64_e32 vcc_lo, s[20:21], v[8:9]
	s_or_b32 s48, vcc_lo, s48
	s_wait_loadcnt 0x0
	s_wait_xcnt 0x1
	v_dual_lshrrev_b32 v11, 4, v15 :: v_dual_bitop2_b32 v10, 15, v15 bitop3:0x40
	s_delay_alu instid0(VALU_DEP_1) | instskip(NEXT) | instid1(VALU_DEP_2)
	v_cvt_f32_ubyte0_e32 v10, v10
	v_cvt_f32_ubyte0_e32 v11, v11
	s_delay_alu instid0(VALU_DEP_2) | instskip(NEXT) | instid1(VALU_DEP_2)
	v_fma_mix_f32 v10, v14, v10, v14 op_sel:[0,0,1] op_sel_hi:[1,0,1]
	v_fma_mix_f32 v11, v14, v11, v14 op_sel:[0,0,1] op_sel_hi:[1,0,1]
	s_delay_alu instid0(VALU_DEP_2) | instskip(NEXT) | instid1(VALU_DEP_2)
	v_cvt_i32_f32_e32 v10, v10
	v_cvt_i32_f32_e32 v11, v11
	s_clause 0x1
	global_store_b32 v0, v10, s[42:43] scale_offset
	global_store_b32 v0, v11, s[42:43] offset:64 scale_offset
	s_wait_xcnt 0x0
	s_and_not1_b32 exec_lo, exec_lo, s48
	s_cbranch_execnz .LBB16_5
	s_branch .LBB16_2
.LBB16_6:
	s_endpgm
	.section	.rodata,"a",@progbits
	.p2align	6, 0x0
	.amdhsa_kernel _ZL10k_get_rowsILi32ELi2EXadL_ZL15dequantize_q4_1PKvliR15HIP_vector_typeIfLj2EEEEiEvS1_PKiPT2_llS2_IjLj3EEmmmmmmmmm
		.amdhsa_group_segment_fixed_size 0
		.amdhsa_private_segment_fixed_size 0
		.amdhsa_kernarg_size 384
		.amdhsa_user_sgpr_count 2
		.amdhsa_user_sgpr_dispatch_ptr 0
		.amdhsa_user_sgpr_queue_ptr 0
		.amdhsa_user_sgpr_kernarg_segment_ptr 1
		.amdhsa_user_sgpr_dispatch_id 0
		.amdhsa_user_sgpr_kernarg_preload_length 0
		.amdhsa_user_sgpr_kernarg_preload_offset 0
		.amdhsa_user_sgpr_private_segment_size 0
		.amdhsa_wavefront_size32 1
		.amdhsa_uses_dynamic_stack 0
		.amdhsa_enable_private_segment 0
		.amdhsa_system_sgpr_workgroup_id_x 1
		.amdhsa_system_sgpr_workgroup_id_y 1
		.amdhsa_system_sgpr_workgroup_id_z 1
		.amdhsa_system_sgpr_workgroup_info 0
		.amdhsa_system_vgpr_workitem_id 0
		.amdhsa_next_free_vgpr 16
		.amdhsa_next_free_sgpr 54
		.amdhsa_named_barrier_count 0
		.amdhsa_reserve_vcc 1
		.amdhsa_float_round_mode_32 0
		.amdhsa_float_round_mode_16_64 0
		.amdhsa_float_denorm_mode_32 3
		.amdhsa_float_denorm_mode_16_64 3
		.amdhsa_fp16_overflow 0
		.amdhsa_memory_ordered 1
		.amdhsa_forward_progress 1
		.amdhsa_inst_pref_size 6
		.amdhsa_round_robin_scheduling 0
		.amdhsa_exception_fp_ieee_invalid_op 0
		.amdhsa_exception_fp_denorm_src 0
		.amdhsa_exception_fp_ieee_div_zero 0
		.amdhsa_exception_fp_ieee_overflow 0
		.amdhsa_exception_fp_ieee_underflow 0
		.amdhsa_exception_fp_ieee_inexact 0
		.amdhsa_exception_int_div_zero 0
	.end_amdhsa_kernel
	.section	.text._ZL10k_get_rowsILi32ELi2EXadL_ZL15dequantize_q4_1PKvliR15HIP_vector_typeIfLj2EEEEiEvS1_PKiPT2_llS2_IjLj3EEmmmmmmmmm,"axG",@progbits,_ZL10k_get_rowsILi32ELi2EXadL_ZL15dequantize_q4_1PKvliR15HIP_vector_typeIfLj2EEEEiEvS1_PKiPT2_llS2_IjLj3EEmmmmmmmmm,comdat
.Lfunc_end16:
	.size	_ZL10k_get_rowsILi32ELi2EXadL_ZL15dequantize_q4_1PKvliR15HIP_vector_typeIfLj2EEEEiEvS1_PKiPT2_llS2_IjLj3EEmmmmmmmmm, .Lfunc_end16-_ZL10k_get_rowsILi32ELi2EXadL_ZL15dequantize_q4_1PKvliR15HIP_vector_typeIfLj2EEEEiEvS1_PKiPT2_llS2_IjLj3EEmmmmmmmmm
                                        ; -- End function
	.set _ZL10k_get_rowsILi32ELi2EXadL_ZL15dequantize_q4_1PKvliR15HIP_vector_typeIfLj2EEEEiEvS1_PKiPT2_llS2_IjLj3EEmmmmmmmmm.num_vgpr, 16
	.set _ZL10k_get_rowsILi32ELi2EXadL_ZL15dequantize_q4_1PKvliR15HIP_vector_typeIfLj2EEEEiEvS1_PKiPT2_llS2_IjLj3EEmmmmmmmmm.num_agpr, 0
	.set _ZL10k_get_rowsILi32ELi2EXadL_ZL15dequantize_q4_1PKvliR15HIP_vector_typeIfLj2EEEEiEvS1_PKiPT2_llS2_IjLj3EEmmmmmmmmm.numbered_sgpr, 54
	.set _ZL10k_get_rowsILi32ELi2EXadL_ZL15dequantize_q4_1PKvliR15HIP_vector_typeIfLj2EEEEiEvS1_PKiPT2_llS2_IjLj3EEmmmmmmmmm.num_named_barrier, 0
	.set _ZL10k_get_rowsILi32ELi2EXadL_ZL15dequantize_q4_1PKvliR15HIP_vector_typeIfLj2EEEEiEvS1_PKiPT2_llS2_IjLj3EEmmmmmmmmm.private_seg_size, 0
	.set _ZL10k_get_rowsILi32ELi2EXadL_ZL15dequantize_q4_1PKvliR15HIP_vector_typeIfLj2EEEEiEvS1_PKiPT2_llS2_IjLj3EEmmmmmmmmm.uses_vcc, 1
	.set _ZL10k_get_rowsILi32ELi2EXadL_ZL15dequantize_q4_1PKvliR15HIP_vector_typeIfLj2EEEEiEvS1_PKiPT2_llS2_IjLj3EEmmmmmmmmm.uses_flat_scratch, 0
	.set _ZL10k_get_rowsILi32ELi2EXadL_ZL15dequantize_q4_1PKvliR15HIP_vector_typeIfLj2EEEEiEvS1_PKiPT2_llS2_IjLj3EEmmmmmmmmm.has_dyn_sized_stack, 0
	.set _ZL10k_get_rowsILi32ELi2EXadL_ZL15dequantize_q4_1PKvliR15HIP_vector_typeIfLj2EEEEiEvS1_PKiPT2_llS2_IjLj3EEmmmmmmmmm.has_recursion, 0
	.set _ZL10k_get_rowsILi32ELi2EXadL_ZL15dequantize_q4_1PKvliR15HIP_vector_typeIfLj2EEEEiEvS1_PKiPT2_llS2_IjLj3EEmmmmmmmmm.has_indirect_call, 0
	.section	.AMDGPU.csdata,"",@progbits
; Kernel info:
; codeLenInByte = 728
; TotalNumSgprs: 56
; NumVgprs: 16
; ScratchSize: 0
; MemoryBound: 0
; FloatMode: 240
; IeeeMode: 1
; LDSByteSize: 0 bytes/workgroup (compile time only)
; SGPRBlocks: 0
; VGPRBlocks: 0
; NumSGPRsForWavesPerEU: 56
; NumVGPRsForWavesPerEU: 16
; NamedBarCnt: 0
; Occupancy: 16
; WaveLimiterHint : 1
; COMPUTE_PGM_RSRC2:SCRATCH_EN: 0
; COMPUTE_PGM_RSRC2:USER_SGPR: 2
; COMPUTE_PGM_RSRC2:TRAP_HANDLER: 0
; COMPUTE_PGM_RSRC2:TGID_X_EN: 1
; COMPUTE_PGM_RSRC2:TGID_Y_EN: 1
; COMPUTE_PGM_RSRC2:TGID_Z_EN: 1
; COMPUTE_PGM_RSRC2:TIDIG_COMP_CNT: 0
	.section	.text._ZL10k_get_rowsILi32ELi2EXadL_ZL15dequantize_q5_0PKvliR15HIP_vector_typeIfLj2EEEEiEvS1_PKiPT2_llS2_IjLj3EEmmmmmmmmm,"axG",@progbits,_ZL10k_get_rowsILi32ELi2EXadL_ZL15dequantize_q5_0PKvliR15HIP_vector_typeIfLj2EEEEiEvS1_PKiPT2_llS2_IjLj3EEmmmmmmmmm,comdat
	.globl	_ZL10k_get_rowsILi32ELi2EXadL_ZL15dequantize_q5_0PKvliR15HIP_vector_typeIfLj2EEEEiEvS1_PKiPT2_llS2_IjLj3EEmmmmmmmmm ; -- Begin function _ZL10k_get_rowsILi32ELi2EXadL_ZL15dequantize_q5_0PKvliR15HIP_vector_typeIfLj2EEEEiEvS1_PKiPT2_llS2_IjLj3EEmmmmmmmmm
	.p2align	8
	.type	_ZL10k_get_rowsILi32ELi2EXadL_ZL15dequantize_q5_0PKvliR15HIP_vector_typeIfLj2EEEEiEvS1_PKiPT2_llS2_IjLj3EEmmmmmmmmm,@function
_ZL10k_get_rowsILi32ELi2EXadL_ZL15dequantize_q5_0PKvliR15HIP_vector_typeIfLj2EEEEiEvS1_PKiPT2_llS2_IjLj3EEmmmmmmmmm: ; @_ZL10k_get_rowsILi32ELi2EXadL_ZL15dequantize_q5_0PKvliR15HIP_vector_typeIfLj2EEEEiEvS1_PKiPT2_llS2_IjLj3EEmmmmmmmmm
; %bb.0:
	s_clause 0x1
	s_load_b64 s[2:3], s[0:1], 0x2c
	s_load_b128 s[20:23], s[0:1], 0x18
	s_bfe_u32 s4, ttmp6, 0x40014
	s_lshr_b32 s6, ttmp7, 16
	s_add_co_i32 s4, s4, 1
	s_bfe_u32 s5, ttmp6, 0x40008
	s_mul_i32 s4, s6, s4
	s_mov_b32 s29, 0
	s_getreg_b32 s38, hwreg(HW_REG_IB_STS2, 6, 4)
	s_add_co_i32 s7, s5, s4
	s_cmp_eq_u32 s38, 0
	s_mov_b32 s5, s29
	s_cselect_b32 s28, s6, s7
	s_wait_kmcnt 0x0
	s_mov_b32 s4, s3
	s_delay_alu instid0(SALU_CYCLE_1) | instskip(NEXT) | instid1(SALU_CYCLE_1)
	s_mul_u64 s[22:23], s[22:23], s[4:5]
	v_cmp_le_i64_e64 s4, s[22:23], s[28:29]
	s_and_b32 vcc_lo, exec_lo, s4
	s_cbranch_vccnz .LBB17_6
; %bb.1:
	s_clause 0x5
	s_load_b64 s[30:31], s[0:1], 0x88
	s_load_b64 s[34:35], s[0:1], 0x78
	s_load_b128 s[24:27], s[0:1], 0x0
	s_load_b64 s[40:41], s[0:1], 0x10
	s_load_b32 s36, s[0:1], 0x28
	s_load_b512 s[4:19], s[0:1], 0x38
	s_bfe_u32 s39, ttmp6, 0x4000c
	s_bfe_u32 s43, ttmp6, 0x40010
	s_and_b32 s42, ttmp7, 0xffff
	s_add_co_i32 s39, s39, 1
	s_add_co_i32 s43, s43, 1
	s_and_b32 s33, ttmp6, 15
	s_bfe_u32 s44, ttmp6, 0x40004
	s_mul_i32 s39, ttmp9, s39
	s_mul_i32 s43, s42, s43
	s_add_co_i32 s39, s33, s39
	s_add_co_i32 s44, s44, s43
	v_mov_b32_e32 v1, 0
	s_mov_b32 s37, s29
	s_wait_kmcnt 0x0
	s_and_b32 s33, s31, 0xffff
	s_cmp_eq_u32 s38, 0
	s_cselect_b32 s31, s42, s44
	s_cselect_b32 s42, ttmp9, s39
	s_mul_i32 s31, s31, s33
	s_ashr_i32 s43, s42, 31
	v_add_lshl_u32 v0, s31, v0, 1
	s_add_nc_u64 s[38:39], s[0:1], 0x80
	s_mul_u64 s[0:1], s[16:17], s[42:43]
	s_mul_u64 s[16:17], s[4:5], s[42:43]
	s_lshl_b64 s[42:43], s[0:1], 2
	v_mov_b64_e32 v[2:3], v[0:1]
	v_cmp_gt_i64_e64 s0, s[20:21], v[0:1]
	v_lshlrev_b64_e32 v[4:5], 27, v[0:1]
	s_lshl_b64 s[44:45], s[16:17], 2
	s_mov_b64 s[4:5], 0xffffffff
	s_add_nc_u64 s[16:17], s[26:27], s[42:43]
	s_add_nc_u64 s[26:27], s[40:41], s[44:45]
	s_mov_b32 s31, s29
	s_mov_b64 s[40:41], s[28:29]
	s_branch .LBB17_3
.LBB17_2:                               ;   in Loop: Header=BB17_3 Depth=1
	s_or_b32 exec_lo, exec_lo, s1
	s_add_nc_u64 s[40:41], s[40:41], s[30:31]
	s_delay_alu instid0(SALU_CYCLE_1)
	v_cmp_ge_i64_e64 s1, s[40:41], s[22:23]
	s_and_b32 vcc_lo, exec_lo, s1
	s_cbranch_vccnz .LBB17_6
.LBB17_3:                               ; =>This Loop Header: Depth=1
                                        ;     Child Loop BB17_5 Depth 2
	s_and_saveexec_b32 s1, s0
	s_cbranch_execz .LBB17_2
; %bb.4:                                ;   in Loop: Header=BB17_3 Depth=1
	s_and_b64 s[42:43], s[40:41], s[4:5]
	v_mov_b64_e32 v[6:7], v[4:5]
	s_mul_u64 s[42:43], s[42:43], s[36:37]
	v_mov_b64_e32 v[8:9], v[2:3]
	s_add_co_i32 s28, s43, s40
	s_delay_alu instid0(SALU_CYCLE_1) | instskip(NEXT) | instid1(SALU_CYCLE_1)
	s_lshr_b32 s42, s28, s2
	s_mul_i32 s28, s42, s3
	s_ashr_i32 s43, s42, 31
	s_sub_co_i32 s44, s40, s28
	s_mul_u64 s[46:47], s[18:19], s[42:43]
	s_ashr_i32 s45, s44, 31
	s_lshl_b64 s[46:47], s[46:47], 2
	s_mul_u64 s[48:49], s[34:35], s[44:45]
	s_add_nc_u64 s[46:47], s[16:17], s[46:47]
	s_lshl_b64 s[48:49], s[48:49], 2
	s_mul_u64 s[50:51], s[12:13], s[42:43]
	s_add_nc_u64 s[46:47], s[46:47], s[48:49]
	s_mul_u64 s[52:53], s[14:15], s[44:45]
	s_load_b32 s48, s[46:47], 0x0
	s_load_b32 s28, s[38:39], 0x4
	s_wait_xcnt 0x0
	s_mul_u64 s[46:47], s[6:7], s[42:43]
	s_delay_alu instid0(SALU_CYCLE_1) | instskip(NEXT) | instid1(SALU_CYCLE_1)
	s_lshl_b64 s[46:47], s[46:47], 2
	s_add_nc_u64 s[42:43], s[26:27], s[46:47]
	s_mul_u64 s[46:47], s[8:9], s[44:45]
	s_delay_alu instid0(SALU_CYCLE_1) | instskip(NEXT) | instid1(SALU_CYCLE_1)
	s_lshl_b64 s[44:45], s[46:47], 2
	s_add_nc_u64 s[42:43], s[42:43], s[44:45]
	s_wait_kmcnt 0x0
	s_ashr_i32 s49, s48, 31
	s_mul_i32 s28, s28, s33
	s_mul_u64 s[46:47], s[10:11], s[48:49]
	s_mov_b32 s48, 0
	s_add_nc_u64 s[44:45], s[24:25], s[46:47]
	s_delay_alu instid0(SALU_CYCLE_1)
	s_add_nc_u64 s[46:47], s[44:45], s[50:51]
	s_lshl_b64 s[44:45], s[28:29], 27
	s_add_nc_u64 s[46:47], s[46:47], s[52:53]
.LBB17_5:                               ;   Parent Loop BB17_3 Depth=1
                                        ; =>  This Inner Loop Header: Depth=2
	s_delay_alu instid0(SALU_CYCLE_1) | instskip(SKIP_2) | instid1(VALU_DEP_2)
	v_mad_nc_i64_i32 v[10:11], v7, 22, s[46:47]
	v_bfe_u32 v0, v8, 1, 4
	v_add_nc_u64_e32 v[6:7], s[44:45], v[6:7]
	v_add_nc_u64_e32 v[12:13], v[10:11], v[0:1]
	s_clause 0x2
	global_load_b32 v14, v[10:11], off
	global_load_u16 v15, v[10:11], off offset:4
	global_load_u8 v16, v[12:13], off offset:6
	s_wait_loadcnt 0x1
	s_wait_xcnt 0x1
	v_perm_b32 v10, v14, v15, 0x1000706
	v_add_nc_u32_e32 v11, 12, v0
	s_wait_loadcnt 0x0
	s_wait_xcnt 0x0
	v_lshrrev_b16 v13, 4, v16
	s_delay_alu instid0(VALU_DEP_2) | instskip(SKIP_2) | instid1(VALU_DEP_3)
	v_dual_lshrrev_b32 v12, v0, v10 :: v_dual_lshrrev_b32 v10, v11, v10
	v_and_or_b32 v0, 0xffffffe0, v8, v0
	v_add_nc_u64_e32 v[8:9], s[28:29], v[8:9]
	v_dual_lshlrev_b32 v11, 4, v12 :: v_dual_bitop2_b32 v10, 16, v10 bitop3:0x40
	s_delay_alu instid0(VALU_DEP_2) | instskip(NEXT) | instid1(VALU_DEP_2)
	v_cmp_le_i64_e32 vcc_lo, s[20:21], v[8:9]
	v_and_b32_e32 v11, 16, v11
	v_or_b32_e32 v12, -16, v13
	v_or_b32_e32 v13, -16, v16
	s_or_b32 s48, vcc_lo, s48
	s_delay_alu instid0(VALU_DEP_1) | instskip(NEXT) | instid1(VALU_DEP_3)
	v_add_nc_u32_e32 v11, v13, v11
	v_bfe_i32 v12, v12, 0, 16
	s_delay_alu instid0(VALU_DEP_2) | instskip(NEXT) | instid1(VALU_DEP_2)
	v_cvt_f32_i32_e32 v11, v11
	v_add_nc_u32_e32 v10, v10, v12
	v_cvt_f32_f16_e32 v12, v14
	s_delay_alu instid0(VALU_DEP_2) | instskip(NEXT) | instid1(VALU_DEP_1)
	v_cvt_f32_i32_e32 v10, v10
	v_dual_mul_f32 v11, v12, v11 :: v_dual_mul_f32 v10, v12, v10
	s_delay_alu instid0(VALU_DEP_1) | instskip(NEXT) | instid1(VALU_DEP_2)
	v_cvt_i32_f32_e32 v11, v11
	v_cvt_i32_f32_e32 v10, v10
	s_clause 0x1
	global_store_b32 v0, v11, s[42:43] scale_offset
	global_store_b32 v0, v10, s[42:43] offset:64 scale_offset
	s_wait_xcnt 0x0
	s_and_not1_b32 exec_lo, exec_lo, s48
	s_cbranch_execnz .LBB17_5
	s_branch .LBB17_2
.LBB17_6:
	s_endpgm
	.section	.rodata,"a",@progbits
	.p2align	6, 0x0
	.amdhsa_kernel _ZL10k_get_rowsILi32ELi2EXadL_ZL15dequantize_q5_0PKvliR15HIP_vector_typeIfLj2EEEEiEvS1_PKiPT2_llS2_IjLj3EEmmmmmmmmm
		.amdhsa_group_segment_fixed_size 0
		.amdhsa_private_segment_fixed_size 0
		.amdhsa_kernarg_size 384
		.amdhsa_user_sgpr_count 2
		.amdhsa_user_sgpr_dispatch_ptr 0
		.amdhsa_user_sgpr_queue_ptr 0
		.amdhsa_user_sgpr_kernarg_segment_ptr 1
		.amdhsa_user_sgpr_dispatch_id 0
		.amdhsa_user_sgpr_kernarg_preload_length 0
		.amdhsa_user_sgpr_kernarg_preload_offset 0
		.amdhsa_user_sgpr_private_segment_size 0
		.amdhsa_wavefront_size32 1
		.amdhsa_uses_dynamic_stack 0
		.amdhsa_enable_private_segment 0
		.amdhsa_system_sgpr_workgroup_id_x 1
		.amdhsa_system_sgpr_workgroup_id_y 1
		.amdhsa_system_sgpr_workgroup_id_z 1
		.amdhsa_system_sgpr_workgroup_info 0
		.amdhsa_system_vgpr_workitem_id 0
		.amdhsa_next_free_vgpr 17
		.amdhsa_next_free_sgpr 54
		.amdhsa_named_barrier_count 0
		.amdhsa_reserve_vcc 1
		.amdhsa_float_round_mode_32 0
		.amdhsa_float_round_mode_16_64 0
		.amdhsa_float_denorm_mode_32 3
		.amdhsa_float_denorm_mode_16_64 3
		.amdhsa_fp16_overflow 0
		.amdhsa_memory_ordered 1
		.amdhsa_forward_progress 1
		.amdhsa_inst_pref_size 7
		.amdhsa_round_robin_scheduling 0
		.amdhsa_exception_fp_ieee_invalid_op 0
		.amdhsa_exception_fp_denorm_src 0
		.amdhsa_exception_fp_ieee_div_zero 0
		.amdhsa_exception_fp_ieee_overflow 0
		.amdhsa_exception_fp_ieee_underflow 0
		.amdhsa_exception_fp_ieee_inexact 0
		.amdhsa_exception_int_div_zero 0
	.end_amdhsa_kernel
	.section	.text._ZL10k_get_rowsILi32ELi2EXadL_ZL15dequantize_q5_0PKvliR15HIP_vector_typeIfLj2EEEEiEvS1_PKiPT2_llS2_IjLj3EEmmmmmmmmm,"axG",@progbits,_ZL10k_get_rowsILi32ELi2EXadL_ZL15dequantize_q5_0PKvliR15HIP_vector_typeIfLj2EEEEiEvS1_PKiPT2_llS2_IjLj3EEmmmmmmmmm,comdat
.Lfunc_end17:
	.size	_ZL10k_get_rowsILi32ELi2EXadL_ZL15dequantize_q5_0PKvliR15HIP_vector_typeIfLj2EEEEiEvS1_PKiPT2_llS2_IjLj3EEmmmmmmmmm, .Lfunc_end17-_ZL10k_get_rowsILi32ELi2EXadL_ZL15dequantize_q5_0PKvliR15HIP_vector_typeIfLj2EEEEiEvS1_PKiPT2_llS2_IjLj3EEmmmmmmmmm
                                        ; -- End function
	.set _ZL10k_get_rowsILi32ELi2EXadL_ZL15dequantize_q5_0PKvliR15HIP_vector_typeIfLj2EEEEiEvS1_PKiPT2_llS2_IjLj3EEmmmmmmmmm.num_vgpr, 17
	.set _ZL10k_get_rowsILi32ELi2EXadL_ZL15dequantize_q5_0PKvliR15HIP_vector_typeIfLj2EEEEiEvS1_PKiPT2_llS2_IjLj3EEmmmmmmmmm.num_agpr, 0
	.set _ZL10k_get_rowsILi32ELi2EXadL_ZL15dequantize_q5_0PKvliR15HIP_vector_typeIfLj2EEEEiEvS1_PKiPT2_llS2_IjLj3EEmmmmmmmmm.numbered_sgpr, 54
	.set _ZL10k_get_rowsILi32ELi2EXadL_ZL15dequantize_q5_0PKvliR15HIP_vector_typeIfLj2EEEEiEvS1_PKiPT2_llS2_IjLj3EEmmmmmmmmm.num_named_barrier, 0
	.set _ZL10k_get_rowsILi32ELi2EXadL_ZL15dequantize_q5_0PKvliR15HIP_vector_typeIfLj2EEEEiEvS1_PKiPT2_llS2_IjLj3EEmmmmmmmmm.private_seg_size, 0
	.set _ZL10k_get_rowsILi32ELi2EXadL_ZL15dequantize_q5_0PKvliR15HIP_vector_typeIfLj2EEEEiEvS1_PKiPT2_llS2_IjLj3EEmmmmmmmmm.uses_vcc, 1
	.set _ZL10k_get_rowsILi32ELi2EXadL_ZL15dequantize_q5_0PKvliR15HIP_vector_typeIfLj2EEEEiEvS1_PKiPT2_llS2_IjLj3EEmmmmmmmmm.uses_flat_scratch, 0
	.set _ZL10k_get_rowsILi32ELi2EXadL_ZL15dequantize_q5_0PKvliR15HIP_vector_typeIfLj2EEEEiEvS1_PKiPT2_llS2_IjLj3EEmmmmmmmmm.has_dyn_sized_stack, 0
	.set _ZL10k_get_rowsILi32ELi2EXadL_ZL15dequantize_q5_0PKvliR15HIP_vector_typeIfLj2EEEEiEvS1_PKiPT2_llS2_IjLj3EEmmmmmmmmm.has_recursion, 0
	.set _ZL10k_get_rowsILi32ELi2EXadL_ZL15dequantize_q5_0PKvliR15HIP_vector_typeIfLj2EEEEiEvS1_PKiPT2_llS2_IjLj3EEmmmmmmmmm.has_indirect_call, 0
	.section	.AMDGPU.csdata,"",@progbits
; Kernel info:
; codeLenInByte = 820
; TotalNumSgprs: 56
; NumVgprs: 17
; ScratchSize: 0
; MemoryBound: 0
; FloatMode: 240
; IeeeMode: 1
; LDSByteSize: 0 bytes/workgroup (compile time only)
; SGPRBlocks: 0
; VGPRBlocks: 1
; NumSGPRsForWavesPerEU: 56
; NumVGPRsForWavesPerEU: 17
; NamedBarCnt: 0
; Occupancy: 16
; WaveLimiterHint : 1
; COMPUTE_PGM_RSRC2:SCRATCH_EN: 0
; COMPUTE_PGM_RSRC2:USER_SGPR: 2
; COMPUTE_PGM_RSRC2:TRAP_HANDLER: 0
; COMPUTE_PGM_RSRC2:TGID_X_EN: 1
; COMPUTE_PGM_RSRC2:TGID_Y_EN: 1
; COMPUTE_PGM_RSRC2:TGID_Z_EN: 1
; COMPUTE_PGM_RSRC2:TIDIG_COMP_CNT: 0
	.section	.text._ZL10k_get_rowsILi32ELi2EXadL_ZL15dequantize_q5_1PKvliR15HIP_vector_typeIfLj2EEEEiEvS1_PKiPT2_llS2_IjLj3EEmmmmmmmmm,"axG",@progbits,_ZL10k_get_rowsILi32ELi2EXadL_ZL15dequantize_q5_1PKvliR15HIP_vector_typeIfLj2EEEEiEvS1_PKiPT2_llS2_IjLj3EEmmmmmmmmm,comdat
	.globl	_ZL10k_get_rowsILi32ELi2EXadL_ZL15dequantize_q5_1PKvliR15HIP_vector_typeIfLj2EEEEiEvS1_PKiPT2_llS2_IjLj3EEmmmmmmmmm ; -- Begin function _ZL10k_get_rowsILi32ELi2EXadL_ZL15dequantize_q5_1PKvliR15HIP_vector_typeIfLj2EEEEiEvS1_PKiPT2_llS2_IjLj3EEmmmmmmmmm
	.p2align	8
	.type	_ZL10k_get_rowsILi32ELi2EXadL_ZL15dequantize_q5_1PKvliR15HIP_vector_typeIfLj2EEEEiEvS1_PKiPT2_llS2_IjLj3EEmmmmmmmmm,@function
_ZL10k_get_rowsILi32ELi2EXadL_ZL15dequantize_q5_1PKvliR15HIP_vector_typeIfLj2EEEEiEvS1_PKiPT2_llS2_IjLj3EEmmmmmmmmm: ; @_ZL10k_get_rowsILi32ELi2EXadL_ZL15dequantize_q5_1PKvliR15HIP_vector_typeIfLj2EEEEiEvS1_PKiPT2_llS2_IjLj3EEmmmmmmmmm
; %bb.0:
	s_clause 0x1
	s_load_b64 s[2:3], s[0:1], 0x2c
	s_load_b128 s[20:23], s[0:1], 0x18
	s_bfe_u32 s4, ttmp6, 0x40014
	s_lshr_b32 s6, ttmp7, 16
	s_add_co_i32 s4, s4, 1
	s_bfe_u32 s5, ttmp6, 0x40008
	s_mul_i32 s4, s6, s4
	s_mov_b32 s29, 0
	s_getreg_b32 s38, hwreg(HW_REG_IB_STS2, 6, 4)
	s_add_co_i32 s7, s5, s4
	s_cmp_eq_u32 s38, 0
	s_mov_b32 s5, s29
	s_cselect_b32 s28, s6, s7
	s_wait_kmcnt 0x0
	s_mov_b32 s4, s3
	s_delay_alu instid0(SALU_CYCLE_1) | instskip(NEXT) | instid1(SALU_CYCLE_1)
	s_mul_u64 s[22:23], s[22:23], s[4:5]
	v_cmp_le_i64_e64 s4, s[22:23], s[28:29]
	s_and_b32 vcc_lo, exec_lo, s4
	s_cbranch_vccnz .LBB18_6
; %bb.1:
	s_clause 0x5
	s_load_b64 s[30:31], s[0:1], 0x88
	s_load_b64 s[34:35], s[0:1], 0x78
	s_load_b128 s[24:27], s[0:1], 0x0
	s_load_b64 s[40:41], s[0:1], 0x10
	s_load_b32 s36, s[0:1], 0x28
	s_load_b512 s[4:19], s[0:1], 0x38
	s_bfe_u32 s39, ttmp6, 0x4000c
	s_bfe_u32 s43, ttmp6, 0x40010
	s_and_b32 s42, ttmp7, 0xffff
	s_add_co_i32 s39, s39, 1
	s_add_co_i32 s43, s43, 1
	s_and_b32 s33, ttmp6, 15
	s_bfe_u32 s44, ttmp6, 0x40004
	s_mul_i32 s39, ttmp9, s39
	s_mul_i32 s43, s42, s43
	s_add_co_i32 s39, s33, s39
	s_add_co_i32 s44, s44, s43
	v_mov_b32_e32 v1, 0
	s_mov_b32 s37, s29
	s_wait_kmcnt 0x0
	s_and_b32 s33, s31, 0xffff
	s_cmp_eq_u32 s38, 0
	s_cselect_b32 s31, s42, s44
	s_cselect_b32 s42, ttmp9, s39
	s_mul_i32 s31, s31, s33
	s_ashr_i32 s43, s42, 31
	v_add_lshl_u32 v0, s31, v0, 1
	s_add_nc_u64 s[38:39], s[0:1], 0x80
	s_mul_u64 s[0:1], s[16:17], s[42:43]
	s_mul_u64 s[16:17], s[4:5], s[42:43]
	s_lshl_b64 s[42:43], s[0:1], 2
	v_mov_b64_e32 v[2:3], v[0:1]
	v_cmp_gt_i64_e64 s0, s[20:21], v[0:1]
	v_lshlrev_b64_e32 v[4:5], 27, v[0:1]
	s_lshl_b64 s[44:45], s[16:17], 2
	s_mov_b64 s[4:5], 0xffffffff
	s_add_nc_u64 s[16:17], s[26:27], s[42:43]
	s_add_nc_u64 s[26:27], s[40:41], s[44:45]
	s_mov_b32 s31, s29
	s_mov_b64 s[40:41], s[28:29]
	s_branch .LBB18_3
.LBB18_2:                               ;   in Loop: Header=BB18_3 Depth=1
	s_or_b32 exec_lo, exec_lo, s1
	s_add_nc_u64 s[40:41], s[40:41], s[30:31]
	s_delay_alu instid0(SALU_CYCLE_1)
	v_cmp_ge_i64_e64 s1, s[40:41], s[22:23]
	s_and_b32 vcc_lo, exec_lo, s1
	s_cbranch_vccnz .LBB18_6
.LBB18_3:                               ; =>This Loop Header: Depth=1
                                        ;     Child Loop BB18_5 Depth 2
	s_and_saveexec_b32 s1, s0
	s_cbranch_execz .LBB18_2
; %bb.4:                                ;   in Loop: Header=BB18_3 Depth=1
	s_and_b64 s[42:43], s[40:41], s[4:5]
	v_mov_b64_e32 v[6:7], v[4:5]
	s_mul_u64 s[42:43], s[42:43], s[36:37]
	v_mov_b64_e32 v[8:9], v[2:3]
	s_add_co_i32 s28, s43, s40
	s_delay_alu instid0(SALU_CYCLE_1) | instskip(NEXT) | instid1(SALU_CYCLE_1)
	s_lshr_b32 s42, s28, s2
	s_mul_i32 s28, s42, s3
	s_ashr_i32 s43, s42, 31
	s_sub_co_i32 s44, s40, s28
	s_mul_u64 s[46:47], s[18:19], s[42:43]
	s_ashr_i32 s45, s44, 31
	s_lshl_b64 s[46:47], s[46:47], 2
	s_mul_u64 s[48:49], s[34:35], s[44:45]
	s_add_nc_u64 s[46:47], s[16:17], s[46:47]
	s_lshl_b64 s[48:49], s[48:49], 2
	s_mul_u64 s[50:51], s[12:13], s[42:43]
	s_add_nc_u64 s[46:47], s[46:47], s[48:49]
	s_mul_u64 s[52:53], s[14:15], s[44:45]
	s_load_b32 s48, s[46:47], 0x0
	s_load_b32 s28, s[38:39], 0x4
	s_wait_xcnt 0x0
	s_mul_u64 s[46:47], s[6:7], s[42:43]
	s_delay_alu instid0(SALU_CYCLE_1) | instskip(NEXT) | instid1(SALU_CYCLE_1)
	s_lshl_b64 s[46:47], s[46:47], 2
	s_add_nc_u64 s[42:43], s[26:27], s[46:47]
	s_mul_u64 s[46:47], s[8:9], s[44:45]
	s_delay_alu instid0(SALU_CYCLE_1) | instskip(NEXT) | instid1(SALU_CYCLE_1)
	s_lshl_b64 s[44:45], s[46:47], 2
	s_add_nc_u64 s[42:43], s[42:43], s[44:45]
	s_wait_kmcnt 0x0
	s_ashr_i32 s49, s48, 31
	s_mul_i32 s28, s28, s33
	s_mul_u64 s[46:47], s[10:11], s[48:49]
	s_mov_b32 s48, 0
	s_add_nc_u64 s[44:45], s[24:25], s[46:47]
	s_delay_alu instid0(SALU_CYCLE_1)
	s_add_nc_u64 s[46:47], s[44:45], s[50:51]
	s_lshl_b64 s[44:45], s[28:29], 27
	s_add_nc_u64 s[46:47], s[46:47], s[52:53]
.LBB18_5:                               ;   Parent Loop BB18_3 Depth=1
                                        ; =>  This Inner Loop Header: Depth=2
	s_delay_alu instid0(SALU_CYCLE_1) | instskip(SKIP_2) | instid1(VALU_DEP_2)
	v_mad_nc_i64_i32 v[10:11], v7, 24, s[46:47]
	v_bfe_u32 v0, v8, 1, 4
	v_add_nc_u64_e32 v[6:7], s[44:45], v[6:7]
	v_add_nc_u64_e32 v[12:13], v[10:11], v[0:1]
	s_clause 0x1
	global_load_b64 v[14:15], v[10:11], off
	global_load_u8 v16, v[12:13], off offset:8
	s_wait_loadcnt 0x1
	s_wait_xcnt 0x1
	v_dual_add_nc_u32 v10, 12, v0 :: v_dual_lshrrev_b32 v11, v0, v15
	s_wait_loadcnt 0x0
	s_wait_xcnt 0x0
	s_delay_alu instid0(VALU_DEP_1) | instskip(SKIP_4) | instid1(VALU_DEP_4)
	v_dual_lshrrev_b32 v10, v10, v15 :: v_dual_bitop2_b32 v12, 15, v16 bitop3:0x40
	v_lshrrev_b16 v13, 4, v16
	v_and_or_b32 v0, 0xffffffe0, v8, v0
	v_lshlrev_b32_e32 v11, 4, v11
	v_add_nc_u64_e32 v[8:9], s[28:29], v[8:9]
	v_and_or_b32 v10, v10, 16, v13
	s_delay_alu instid0(VALU_DEP_3) | instskip(NEXT) | instid1(VALU_DEP_2)
	v_and_or_b32 v11, v11, 16, v12
	v_cvt_f32_ubyte0_e32 v10, v10
	s_delay_alu instid0(VALU_DEP_4) | instskip(NEXT) | instid1(VALU_DEP_3)
	v_cmp_le_i64_e32 vcc_lo, s[20:21], v[8:9]
	v_cvt_f32_ubyte0_e32 v11, v11
	s_delay_alu instid0(VALU_DEP_3) | instskip(NEXT) | instid1(VALU_DEP_2)
	v_fma_mix_f32 v10, v14, v10, v14 op_sel:[0,0,1] op_sel_hi:[1,0,1]
	v_fma_mix_f32 v11, v14, v11, v14 op_sel:[0,0,1] op_sel_hi:[1,0,1]
	s_or_b32 s48, vcc_lo, s48
	s_delay_alu instid0(VALU_DEP_2) | instskip(NEXT) | instid1(VALU_DEP_2)
	v_cvt_i32_f32_e32 v10, v10
	v_cvt_i32_f32_e32 v11, v11
	s_clause 0x1
	global_store_b32 v0, v11, s[42:43] scale_offset
	global_store_b32 v0, v10, s[42:43] offset:64 scale_offset
	s_wait_xcnt 0x0
	s_and_not1_b32 exec_lo, exec_lo, s48
	s_cbranch_execnz .LBB18_5
	s_branch .LBB18_2
.LBB18_6:
	s_endpgm
	.section	.rodata,"a",@progbits
	.p2align	6, 0x0
	.amdhsa_kernel _ZL10k_get_rowsILi32ELi2EXadL_ZL15dequantize_q5_1PKvliR15HIP_vector_typeIfLj2EEEEiEvS1_PKiPT2_llS2_IjLj3EEmmmmmmmmm
		.amdhsa_group_segment_fixed_size 0
		.amdhsa_private_segment_fixed_size 0
		.amdhsa_kernarg_size 384
		.amdhsa_user_sgpr_count 2
		.amdhsa_user_sgpr_dispatch_ptr 0
		.amdhsa_user_sgpr_queue_ptr 0
		.amdhsa_user_sgpr_kernarg_segment_ptr 1
		.amdhsa_user_sgpr_dispatch_id 0
		.amdhsa_user_sgpr_kernarg_preload_length 0
		.amdhsa_user_sgpr_kernarg_preload_offset 0
		.amdhsa_user_sgpr_private_segment_size 0
		.amdhsa_wavefront_size32 1
		.amdhsa_uses_dynamic_stack 0
		.amdhsa_enable_private_segment 0
		.amdhsa_system_sgpr_workgroup_id_x 1
		.amdhsa_system_sgpr_workgroup_id_y 1
		.amdhsa_system_sgpr_workgroup_id_z 1
		.amdhsa_system_sgpr_workgroup_info 0
		.amdhsa_system_vgpr_workitem_id 0
		.amdhsa_next_free_vgpr 17
		.amdhsa_next_free_sgpr 54
		.amdhsa_named_barrier_count 0
		.amdhsa_reserve_vcc 1
		.amdhsa_float_round_mode_32 0
		.amdhsa_float_round_mode_16_64 0
		.amdhsa_float_denorm_mode_32 3
		.amdhsa_float_denorm_mode_16_64 3
		.amdhsa_fp16_overflow 0
		.amdhsa_memory_ordered 1
		.amdhsa_forward_progress 1
		.amdhsa_inst_pref_size 7
		.amdhsa_round_robin_scheduling 0
		.amdhsa_exception_fp_ieee_invalid_op 0
		.amdhsa_exception_fp_denorm_src 0
		.amdhsa_exception_fp_ieee_div_zero 0
		.amdhsa_exception_fp_ieee_overflow 0
		.amdhsa_exception_fp_ieee_underflow 0
		.amdhsa_exception_fp_ieee_inexact 0
		.amdhsa_exception_int_div_zero 0
	.end_amdhsa_kernel
	.section	.text._ZL10k_get_rowsILi32ELi2EXadL_ZL15dequantize_q5_1PKvliR15HIP_vector_typeIfLj2EEEEiEvS1_PKiPT2_llS2_IjLj3EEmmmmmmmmm,"axG",@progbits,_ZL10k_get_rowsILi32ELi2EXadL_ZL15dequantize_q5_1PKvliR15HIP_vector_typeIfLj2EEEEiEvS1_PKiPT2_llS2_IjLj3EEmmmmmmmmm,comdat
.Lfunc_end18:
	.size	_ZL10k_get_rowsILi32ELi2EXadL_ZL15dequantize_q5_1PKvliR15HIP_vector_typeIfLj2EEEEiEvS1_PKiPT2_llS2_IjLj3EEmmmmmmmmm, .Lfunc_end18-_ZL10k_get_rowsILi32ELi2EXadL_ZL15dequantize_q5_1PKvliR15HIP_vector_typeIfLj2EEEEiEvS1_PKiPT2_llS2_IjLj3EEmmmmmmmmm
                                        ; -- End function
	.set _ZL10k_get_rowsILi32ELi2EXadL_ZL15dequantize_q5_1PKvliR15HIP_vector_typeIfLj2EEEEiEvS1_PKiPT2_llS2_IjLj3EEmmmmmmmmm.num_vgpr, 17
	.set _ZL10k_get_rowsILi32ELi2EXadL_ZL15dequantize_q5_1PKvliR15HIP_vector_typeIfLj2EEEEiEvS1_PKiPT2_llS2_IjLj3EEmmmmmmmmm.num_agpr, 0
	.set _ZL10k_get_rowsILi32ELi2EXadL_ZL15dequantize_q5_1PKvliR15HIP_vector_typeIfLj2EEEEiEvS1_PKiPT2_llS2_IjLj3EEmmmmmmmmm.numbered_sgpr, 54
	.set _ZL10k_get_rowsILi32ELi2EXadL_ZL15dequantize_q5_1PKvliR15HIP_vector_typeIfLj2EEEEiEvS1_PKiPT2_llS2_IjLj3EEmmmmmmmmm.num_named_barrier, 0
	.set _ZL10k_get_rowsILi32ELi2EXadL_ZL15dequantize_q5_1PKvliR15HIP_vector_typeIfLj2EEEEiEvS1_PKiPT2_llS2_IjLj3EEmmmmmmmmm.private_seg_size, 0
	.set _ZL10k_get_rowsILi32ELi2EXadL_ZL15dequantize_q5_1PKvliR15HIP_vector_typeIfLj2EEEEiEvS1_PKiPT2_llS2_IjLj3EEmmmmmmmmm.uses_vcc, 1
	.set _ZL10k_get_rowsILi32ELi2EXadL_ZL15dequantize_q5_1PKvliR15HIP_vector_typeIfLj2EEEEiEvS1_PKiPT2_llS2_IjLj3EEmmmmmmmmm.uses_flat_scratch, 0
	.set _ZL10k_get_rowsILi32ELi2EXadL_ZL15dequantize_q5_1PKvliR15HIP_vector_typeIfLj2EEEEiEvS1_PKiPT2_llS2_IjLj3EEmmmmmmmmm.has_dyn_sized_stack, 0
	.set _ZL10k_get_rowsILi32ELi2EXadL_ZL15dequantize_q5_1PKvliR15HIP_vector_typeIfLj2EEEEiEvS1_PKiPT2_llS2_IjLj3EEmmmmmmmmm.has_recursion, 0
	.set _ZL10k_get_rowsILi32ELi2EXadL_ZL15dequantize_q5_1PKvliR15HIP_vector_typeIfLj2EEEEiEvS1_PKiPT2_llS2_IjLj3EEmmmmmmmmm.has_indirect_call, 0
	.section	.AMDGPU.csdata,"",@progbits
; Kernel info:
; codeLenInByte = 784
; TotalNumSgprs: 56
; NumVgprs: 17
; ScratchSize: 0
; MemoryBound: 0
; FloatMode: 240
; IeeeMode: 1
; LDSByteSize: 0 bytes/workgroup (compile time only)
; SGPRBlocks: 0
; VGPRBlocks: 1
; NumSGPRsForWavesPerEU: 56
; NumVGPRsForWavesPerEU: 17
; NamedBarCnt: 0
; Occupancy: 16
; WaveLimiterHint : 1
; COMPUTE_PGM_RSRC2:SCRATCH_EN: 0
; COMPUTE_PGM_RSRC2:USER_SGPR: 2
; COMPUTE_PGM_RSRC2:TRAP_HANDLER: 0
; COMPUTE_PGM_RSRC2:TGID_X_EN: 1
; COMPUTE_PGM_RSRC2:TGID_Y_EN: 1
; COMPUTE_PGM_RSRC2:TGID_Z_EN: 1
; COMPUTE_PGM_RSRC2:TIDIG_COMP_CNT: 0
	.section	.text._ZL10k_get_rowsILi32ELi1EXadL_ZL15dequantize_q8_0PKvliR15HIP_vector_typeIfLj2EEEEiEvS1_PKiPT2_llS2_IjLj3EEmmmmmmmmm,"axG",@progbits,_ZL10k_get_rowsILi32ELi1EXadL_ZL15dequantize_q8_0PKvliR15HIP_vector_typeIfLj2EEEEiEvS1_PKiPT2_llS2_IjLj3EEmmmmmmmmm,comdat
	.globl	_ZL10k_get_rowsILi32ELi1EXadL_ZL15dequantize_q8_0PKvliR15HIP_vector_typeIfLj2EEEEiEvS1_PKiPT2_llS2_IjLj3EEmmmmmmmmm ; -- Begin function _ZL10k_get_rowsILi32ELi1EXadL_ZL15dequantize_q8_0PKvliR15HIP_vector_typeIfLj2EEEEiEvS1_PKiPT2_llS2_IjLj3EEmmmmmmmmm
	.p2align	8
	.type	_ZL10k_get_rowsILi32ELi1EXadL_ZL15dequantize_q8_0PKvliR15HIP_vector_typeIfLj2EEEEiEvS1_PKiPT2_llS2_IjLj3EEmmmmmmmmm,@function
_ZL10k_get_rowsILi32ELi1EXadL_ZL15dequantize_q8_0PKvliR15HIP_vector_typeIfLj2EEEEiEvS1_PKiPT2_llS2_IjLj3EEmmmmmmmmm: ; @_ZL10k_get_rowsILi32ELi1EXadL_ZL15dequantize_q8_0PKvliR15HIP_vector_typeIfLj2EEEEiEvS1_PKiPT2_llS2_IjLj3EEmmmmmmmmm
; %bb.0:
	s_clause 0x1
	s_load_b64 s[2:3], s[0:1], 0x2c
	s_load_b128 s[20:23], s[0:1], 0x18
	s_bfe_u32 s4, ttmp6, 0x40014
	s_lshr_b32 s6, ttmp7, 16
	s_add_co_i32 s4, s4, 1
	s_bfe_u32 s5, ttmp6, 0x40008
	s_mul_i32 s4, s6, s4
	s_mov_b32 s29, 0
	s_getreg_b32 s38, hwreg(HW_REG_IB_STS2, 6, 4)
	s_add_co_i32 s7, s5, s4
	s_cmp_eq_u32 s38, 0
	s_mov_b32 s5, s29
	s_cselect_b32 s28, s6, s7
	s_wait_kmcnt 0x0
	s_mov_b32 s4, s3
	s_delay_alu instid0(SALU_CYCLE_1) | instskip(NEXT) | instid1(SALU_CYCLE_1)
	s_mul_u64 s[22:23], s[22:23], s[4:5]
	v_cmp_le_i64_e64 s4, s[22:23], s[28:29]
	s_and_b32 vcc_lo, exec_lo, s4
	s_cbranch_vccnz .LBB19_6
; %bb.1:
	s_clause 0x5
	s_load_b64 s[30:31], s[0:1], 0x88
	s_load_b64 s[34:35], s[0:1], 0x78
	s_load_b128 s[24:27], s[0:1], 0x0
	s_load_b64 s[40:41], s[0:1], 0x10
	s_load_b32 s36, s[0:1], 0x28
	s_load_b512 s[4:19], s[0:1], 0x38
	s_bfe_u32 s39, ttmp6, 0x4000c
	s_bfe_u32 s43, ttmp6, 0x40010
	s_and_b32 s42, ttmp7, 0xffff
	s_add_co_i32 s39, s39, 1
	s_add_co_i32 s43, s43, 1
	s_and_b32 s33, ttmp6, 15
	s_bfe_u32 s44, ttmp6, 0x40004
	s_mul_i32 s39, ttmp9, s39
	s_mul_i32 s43, s42, s43
	s_add_co_i32 s39, s33, s39
	s_add_co_i32 s44, s44, s43
	s_mov_b32 s37, s29
	s_wait_kmcnt 0x0
	s_and_b32 s33, s31, 0xffff
	s_cmp_eq_u32 s38, 0
	s_cselect_b32 s31, s42, s44
	s_cselect_b32 s38, ttmp9, s39
	s_mul_i32 s31, s31, s33
	s_ashr_i32 s39, s38, 31
	v_add_lshl_u32 v0, s31, v0, 1
	v_mov_b32_e32 v1, 0
	s_mul_u64 s[42:43], s[16:17], s[38:39]
	s_add_nc_u64 s[16:17], s[0:1], 0x80
	s_lshl_b64 s[0:1], s[42:43], 2
	s_mul_u64 s[38:39], s[4:5], s[38:39]
	s_add_nc_u64 s[4:5], s[26:27], s[0:1]
	v_mov_b32_e32 v7, v0
	v_mov_b64_e32 v[2:3], v[0:1]
	v_cmp_gt_i64_e64 s0, s[20:21], v[0:1]
	v_lshlrev_b64_e32 v[4:5], 27, v[0:1]
	v_mov_b32_e32 v6, v1
	s_lshl_b64 s[38:39], s[38:39], 2
	s_mov_b64 s[26:27], 0xffffffff
	s_add_nc_u64 s[38:39], s[40:41], s[38:39]
	s_mov_b32 s31, s29
	s_mov_b64 s[40:41], s[28:29]
	s_branch .LBB19_3
.LBB19_2:                               ;   in Loop: Header=BB19_3 Depth=1
	s_or_b32 exec_lo, exec_lo, s1
	s_add_nc_u64 s[40:41], s[40:41], s[30:31]
	s_delay_alu instid0(SALU_CYCLE_1)
	v_cmp_ge_i64_e64 s1, s[40:41], s[22:23]
	s_and_b32 vcc_lo, exec_lo, s1
	s_cbranch_vccnz .LBB19_6
.LBB19_3:                               ; =>This Loop Header: Depth=1
                                        ;     Child Loop BB19_5 Depth 2
	s_and_saveexec_b32 s1, s0
	s_cbranch_execz .LBB19_2
; %bb.4:                                ;   in Loop: Header=BB19_3 Depth=1
	s_and_b64 s[42:43], s[40:41], s[26:27]
	v_mov_b64_e32 v[8:9], v[6:7]
	s_mul_u64 s[42:43], s[42:43], s[36:37]
	v_mov_b64_e32 v[10:11], v[4:5]
	s_add_co_i32 s28, s43, s40
	v_mov_b64_e32 v[12:13], v[2:3]
	s_lshr_b32 s44, s28, s2
	s_delay_alu instid0(SALU_CYCLE_1)
	s_mul_i32 s28, s44, s3
	s_ashr_i32 s45, s44, 31
	s_sub_co_i32 s46, s40, s28
	s_mul_u64 s[42:43], s[18:19], s[44:45]
	s_ashr_i32 s47, s46, 31
	s_lshl_b64 s[42:43], s[42:43], 2
	s_mul_u64 s[48:49], s[34:35], s[46:47]
	s_add_nc_u64 s[42:43], s[4:5], s[42:43]
	s_lshl_b64 s[48:49], s[48:49], 2
	s_mul_u64 s[50:51], s[6:7], s[44:45]
	s_add_nc_u64 s[42:43], s[42:43], s[48:49]
	s_lshl_b64 s[50:51], s[50:51], 2
	s_load_b32 s48, s[42:43], 0x0
	s_load_b32 s28, s[16:17], 0x4
	s_mul_u64 s[52:53], s[12:13], s[44:45]
	s_add_nc_u64 s[44:45], s[38:39], s[50:51]
	s_mul_u64 s[50:51], s[8:9], s[46:47]
	s_mul_u64 s[54:55], s[14:15], s[46:47]
	s_lshl_b64 s[46:47], s[50:51], 2
	s_wait_xcnt 0x0
	s_mov_b32 s42, 0
	s_add_nc_u64 s[44:45], s[44:45], s[46:47]
	s_mov_b32 s50, s42
	s_wait_kmcnt 0x0
	s_ashr_i32 s49, s48, 31
	s_mul_i32 s28, s28, s33
	s_mul_u64 s[46:47], s[10:11], s[48:49]
	s_mov_b32 s43, s28
	s_add_nc_u64 s[48:49], s[24:25], s[46:47]
	s_lshl_b64 s[46:47], s[28:29], 27
	s_add_nc_u64 s[48:49], s[48:49], s[52:53]
	s_delay_alu instid0(SALU_CYCLE_1)
	s_add_nc_u64 s[48:49], s[48:49], s[54:55]
.LBB19_5:                               ;   Parent Loop BB19_3 Depth=1
                                        ; =>  This Inner Loop Header: Depth=2
	s_delay_alu instid0(SALU_CYCLE_1) | instskip(SKIP_3) | instid1(VALU_DEP_2)
	v_mad_nc_i64_i32 v[14:15], v11, 34, s[48:49]
	v_and_b32_e32 v0, 31, v12
	v_add_nc_u64_e32 v[12:13], s[28:29], v[12:13]
	v_add_nc_u64_e32 v[10:11], s[46:47], v[10:11]
	v_cmp_le_i64_e32 vcc_lo, s[20:21], v[12:13]
	s_delay_alu instid0(VALU_DEP_4)
	v_add_nc_u64_e32 v[16:17], v[14:15], v[0:1]
	s_clause 0x1
	global_load_u16 v0, v[14:15], off
	global_load_u16 v18, v[16:17], off offset:2
	s_or_b32 s50, vcc_lo, s50
	s_wait_loadcnt 0x1
	v_cvt_f32_f16_e32 v0, v0
	s_wait_loadcnt 0x0
	s_wait_xcnt 0x1
	v_ashrrev_i16 v14, 8, v18
	v_bfe_i32 v15, v18, 0, 8
	s_delay_alu instid0(VALU_DEP_2) | instskip(SKIP_1) | instid1(VALU_DEP_2)
	v_bfe_i32 v14, v14, 0, 16
	s_wait_xcnt 0x0
	v_bfe_i32 v16, v15, 0, 16
	s_delay_alu instid0(VALU_DEP_2) | instskip(NEXT) | instid1(VALU_DEP_2)
	v_cvt_f32_i32_e32 v15, v14
	v_cvt_f32_i32_e32 v14, v16
	v_ashrrev_i64 v[16:17], 30, v[8:9]
	v_add_nc_u64_e32 v[8:9], s[42:43], v[8:9]
	s_delay_alu instid0(VALU_DEP_3) | instskip(NEXT) | instid1(VALU_DEP_3)
	v_pk_mul_f32 v[14:15], v[0:1], v[14:15] op_sel_hi:[0,1]
	v_add_nc_u64_e32 v[16:17], s[44:45], v[16:17]
	s_delay_alu instid0(VALU_DEP_2) | instskip(NEXT) | instid1(VALU_DEP_3)
	v_cvt_i32_f32_e32 v15, v15
	v_cvt_i32_f32_e32 v14, v14
	global_store_b64 v[16:17], v[14:15], off
	s_wait_xcnt 0x0
	s_and_not1_b32 exec_lo, exec_lo, s50
	s_cbranch_execnz .LBB19_5
	s_branch .LBB19_2
.LBB19_6:
	s_endpgm
	.section	.rodata,"a",@progbits
	.p2align	6, 0x0
	.amdhsa_kernel _ZL10k_get_rowsILi32ELi1EXadL_ZL15dequantize_q8_0PKvliR15HIP_vector_typeIfLj2EEEEiEvS1_PKiPT2_llS2_IjLj3EEmmmmmmmmm
		.amdhsa_group_segment_fixed_size 0
		.amdhsa_private_segment_fixed_size 0
		.amdhsa_kernarg_size 384
		.amdhsa_user_sgpr_count 2
		.amdhsa_user_sgpr_dispatch_ptr 0
		.amdhsa_user_sgpr_queue_ptr 0
		.amdhsa_user_sgpr_kernarg_segment_ptr 1
		.amdhsa_user_sgpr_dispatch_id 0
		.amdhsa_user_sgpr_kernarg_preload_length 0
		.amdhsa_user_sgpr_kernarg_preload_offset 0
		.amdhsa_user_sgpr_private_segment_size 0
		.amdhsa_wavefront_size32 1
		.amdhsa_uses_dynamic_stack 0
		.amdhsa_enable_private_segment 0
		.amdhsa_system_sgpr_workgroup_id_x 1
		.amdhsa_system_sgpr_workgroup_id_y 1
		.amdhsa_system_sgpr_workgroup_id_z 1
		.amdhsa_system_sgpr_workgroup_info 0
		.amdhsa_system_vgpr_workitem_id 0
		.amdhsa_next_free_vgpr 19
		.amdhsa_next_free_sgpr 56
		.amdhsa_named_barrier_count 0
		.amdhsa_reserve_vcc 1
		.amdhsa_float_round_mode_32 0
		.amdhsa_float_round_mode_16_64 0
		.amdhsa_float_denorm_mode_32 3
		.amdhsa_float_denorm_mode_16_64 3
		.amdhsa_fp16_overflow 0
		.amdhsa_memory_ordered 1
		.amdhsa_forward_progress 1
		.amdhsa_inst_pref_size 6
		.amdhsa_round_robin_scheduling 0
		.amdhsa_exception_fp_ieee_invalid_op 0
		.amdhsa_exception_fp_denorm_src 0
		.amdhsa_exception_fp_ieee_div_zero 0
		.amdhsa_exception_fp_ieee_overflow 0
		.amdhsa_exception_fp_ieee_underflow 0
		.amdhsa_exception_fp_ieee_inexact 0
		.amdhsa_exception_int_div_zero 0
	.end_amdhsa_kernel
	.section	.text._ZL10k_get_rowsILi32ELi1EXadL_ZL15dequantize_q8_0PKvliR15HIP_vector_typeIfLj2EEEEiEvS1_PKiPT2_llS2_IjLj3EEmmmmmmmmm,"axG",@progbits,_ZL10k_get_rowsILi32ELi1EXadL_ZL15dequantize_q8_0PKvliR15HIP_vector_typeIfLj2EEEEiEvS1_PKiPT2_llS2_IjLj3EEmmmmmmmmm,comdat
.Lfunc_end19:
	.size	_ZL10k_get_rowsILi32ELi1EXadL_ZL15dequantize_q8_0PKvliR15HIP_vector_typeIfLj2EEEEiEvS1_PKiPT2_llS2_IjLj3EEmmmmmmmmm, .Lfunc_end19-_ZL10k_get_rowsILi32ELi1EXadL_ZL15dequantize_q8_0PKvliR15HIP_vector_typeIfLj2EEEEiEvS1_PKiPT2_llS2_IjLj3EEmmmmmmmmm
                                        ; -- End function
	.set _ZL10k_get_rowsILi32ELi1EXadL_ZL15dequantize_q8_0PKvliR15HIP_vector_typeIfLj2EEEEiEvS1_PKiPT2_llS2_IjLj3EEmmmmmmmmm.num_vgpr, 19
	.set _ZL10k_get_rowsILi32ELi1EXadL_ZL15dequantize_q8_0PKvliR15HIP_vector_typeIfLj2EEEEiEvS1_PKiPT2_llS2_IjLj3EEmmmmmmmmm.num_agpr, 0
	.set _ZL10k_get_rowsILi32ELi1EXadL_ZL15dequantize_q8_0PKvliR15HIP_vector_typeIfLj2EEEEiEvS1_PKiPT2_llS2_IjLj3EEmmmmmmmmm.numbered_sgpr, 56
	.set _ZL10k_get_rowsILi32ELi1EXadL_ZL15dequantize_q8_0PKvliR15HIP_vector_typeIfLj2EEEEiEvS1_PKiPT2_llS2_IjLj3EEmmmmmmmmm.num_named_barrier, 0
	.set _ZL10k_get_rowsILi32ELi1EXadL_ZL15dequantize_q8_0PKvliR15HIP_vector_typeIfLj2EEEEiEvS1_PKiPT2_llS2_IjLj3EEmmmmmmmmm.private_seg_size, 0
	.set _ZL10k_get_rowsILi32ELi1EXadL_ZL15dequantize_q8_0PKvliR15HIP_vector_typeIfLj2EEEEiEvS1_PKiPT2_llS2_IjLj3EEmmmmmmmmm.uses_vcc, 1
	.set _ZL10k_get_rowsILi32ELi1EXadL_ZL15dequantize_q8_0PKvliR15HIP_vector_typeIfLj2EEEEiEvS1_PKiPT2_llS2_IjLj3EEmmmmmmmmm.uses_flat_scratch, 0
	.set _ZL10k_get_rowsILi32ELi1EXadL_ZL15dequantize_q8_0PKvliR15HIP_vector_typeIfLj2EEEEiEvS1_PKiPT2_llS2_IjLj3EEmmmmmmmmm.has_dyn_sized_stack, 0
	.set _ZL10k_get_rowsILi32ELi1EXadL_ZL15dequantize_q8_0PKvliR15HIP_vector_typeIfLj2EEEEiEvS1_PKiPT2_llS2_IjLj3EEmmmmmmmmm.has_recursion, 0
	.set _ZL10k_get_rowsILi32ELi1EXadL_ZL15dequantize_q8_0PKvliR15HIP_vector_typeIfLj2EEEEiEvS1_PKiPT2_llS2_IjLj3EEmmmmmmmmm.has_indirect_call, 0
	.section	.AMDGPU.csdata,"",@progbits
; Kernel info:
; codeLenInByte = 756
; TotalNumSgprs: 58
; NumVgprs: 19
; ScratchSize: 0
; MemoryBound: 0
; FloatMode: 240
; IeeeMode: 1
; LDSByteSize: 0 bytes/workgroup (compile time only)
; SGPRBlocks: 0
; VGPRBlocks: 1
; NumSGPRsForWavesPerEU: 58
; NumVGPRsForWavesPerEU: 19
; NamedBarCnt: 0
; Occupancy: 16
; WaveLimiterHint : 1
; COMPUTE_PGM_RSRC2:SCRATCH_EN: 0
; COMPUTE_PGM_RSRC2:USER_SGPR: 2
; COMPUTE_PGM_RSRC2:TRAP_HANDLER: 0
; COMPUTE_PGM_RSRC2:TGID_X_EN: 1
; COMPUTE_PGM_RSRC2:TGID_Y_EN: 1
; COMPUTE_PGM_RSRC2:TGID_Z_EN: 1
; COMPUTE_PGM_RSRC2:TIDIG_COMP_CNT: 0
	.section	.text._ZL16k_get_rows_floatI6__halfS0_EvPKT_PKiPT0_ll15HIP_vector_typeIjLj3EEmmmmmmmmm,"axG",@progbits,_ZL16k_get_rows_floatI6__halfS0_EvPKT_PKiPT0_ll15HIP_vector_typeIjLj3EEmmmmmmmmm,comdat
	.globl	_ZL16k_get_rows_floatI6__halfS0_EvPKT_PKiPT0_ll15HIP_vector_typeIjLj3EEmmmmmmmmm ; -- Begin function _ZL16k_get_rows_floatI6__halfS0_EvPKT_PKiPT0_ll15HIP_vector_typeIjLj3EEmmmmmmmmm
	.p2align	8
	.type	_ZL16k_get_rows_floatI6__halfS0_EvPKT_PKiPT0_ll15HIP_vector_typeIjLj3EEmmmmmmmmm,@function
_ZL16k_get_rows_floatI6__halfS0_EvPKT_PKiPT0_ll15HIP_vector_typeIjLj3EEmmmmmmmmm: ; @_ZL16k_get_rows_floatI6__halfS0_EvPKT_PKiPT0_ll15HIP_vector_typeIjLj3EEmmmmmmmmm
; %bb.0:
	s_clause 0x1
	s_load_b64 s[2:3], s[0:1], 0x2c
	s_load_b64 s[4:5], s[0:1], 0x20
	s_bfe_u32 s6, ttmp6, 0x40014
	s_lshr_b32 s8, ttmp7, 16
	s_add_co_i32 s6, s6, 1
	s_bfe_u32 s7, ttmp6, 0x40008
	s_mul_i32 s6, s8, s6
	s_mov_b32 s29, 0
	s_getreg_b32 s36, hwreg(HW_REG_IB_STS2, 6, 4)
	s_add_co_i32 s9, s7, s6
	s_cmp_eq_u32 s36, 0
	s_mov_b32 s7, s29
	s_cselect_b32 s28, s8, s9
	s_wait_kmcnt 0x0
	s_mov_b32 s6, s3
	s_delay_alu instid0(SALU_CYCLE_1) | instskip(NEXT) | instid1(SALU_CYCLE_1)
	s_mul_u64 s[30:31], s[4:5], s[6:7]
	v_cmp_le_i64_e64 s4, s[30:31], s[28:29]
	s_and_b32 vcc_lo, exec_lo, s4
	s_cbranch_vccnz .LBB20_6
; %bb.1:
	s_clause 0x2
	s_load_b64 s[34:35], s[0:1], 0x88
	s_load_b256 s[20:27], s[0:1], 0x0
	s_load_b512 s[4:19], s[0:1], 0x38
	s_bfe_u32 s37, ttmp6, 0x4000c
	s_bfe_u32 s39, ttmp6, 0x40010
	s_and_b32 s38, ttmp7, 0xffff
	s_add_co_i32 s37, s37, 1
	s_add_co_i32 s39, s39, 1
	s_and_b32 s33, ttmp6, 15
	s_bfe_u32 s40, ttmp6, 0x40004
	s_mul_i32 s37, ttmp9, s37
	s_mul_i32 s39, s38, s39
	s_add_co_i32 s41, s33, s37
	s_add_co_i32 s40, s40, s39
	v_mov_b32_e32 v1, 0
	s_mov_b32 s39, s29
	s_wait_kmcnt 0x0
	s_and_b32 s33, s35, 0xffff
	s_cmp_eq_u32 s36, 0
	s_cselect_b32 s35, s38, s40
	s_clause 0x1
	s_load_b64 s[36:37], s[0:1], 0x78
	s_load_b32 s38, s[0:1], 0x28
	v_mad_u32 v0, s35, s33, v0
	s_cselect_b32 s42, ttmp9, s41
	s_add_nc_u64 s[40:41], s[0:1], 0x80
	s_ashr_i32 s43, s42, 31
	s_mov_b32 s35, s29
	s_wait_xcnt 0x0
	s_mul_u64 s[0:1], s[4:5], s[42:43]
	s_mul_u64 s[4:5], s[16:17], s[42:43]
	s_lshl_b64 s[0:1], s[0:1], 1
	s_lshl_b64 s[16:17], s[4:5], 2
	s_add_nc_u64 s[4:5], s[24:25], s[0:1]
	s_add_nc_u64 s[16:17], s[22:23], s[16:17]
	v_lshlrev_b64_e32 v[4:5], 1, v[0:1]
	v_cmp_gt_i64_e64 s0, s[26:27], v[0:1]
	s_lshl_b64 s[6:7], s[6:7], 1
	s_lshl_b64 s[8:9], s[8:9], 1
	v_add_nc_u64_e32 v[2:3], s[4:5], v[4:5]
	v_add_nc_u64_e32 v[4:5], s[20:21], v[4:5]
	s_mov_b64 s[4:5], 0xffffffff
	s_mov_b64 s[20:21], s[28:29]
	s_branch .LBB20_3
.LBB20_2:                               ;   in Loop: Header=BB20_3 Depth=1
	s_or_b32 exec_lo, exec_lo, s1
	s_add_nc_u64 s[20:21], s[20:21], s[34:35]
	s_delay_alu instid0(SALU_CYCLE_1)
	v_cmp_lt_i64_e64 s1, s[20:21], s[30:31]
	s_and_b32 vcc_lo, exec_lo, s1
	s_cbranch_vccz .LBB20_6
.LBB20_3:                               ; =>This Loop Header: Depth=1
                                        ;     Child Loop BB20_5 Depth 2
	s_and_saveexec_b32 s1, s0
	s_cbranch_execz .LBB20_2
; %bb.4:                                ;   in Loop: Header=BB20_3 Depth=1
	s_and_b64 s[22:23], s[20:21], s[4:5]
	s_load_b32 s28, s[40:41], 0x4
	s_wait_kmcnt 0x0
	s_mul_u64 s[22:23], s[22:23], s[38:39]
	v_mov_b64_e32 v[10:11], v[0:1]
	s_add_co_i32 s22, s23, s20
	s_delay_alu instid0(SALU_CYCLE_1) | instskip(NEXT) | instid1(SALU_CYCLE_1)
	s_lshr_b32 s22, s22, s2
	s_mul_i32 s24, s22, s3
	s_ashr_i32 s23, s22, 31
	s_sub_co_i32 s24, s20, s24
	s_mul_u64 s[42:43], s[18:19], s[22:23]
	s_ashr_i32 s25, s24, 31
	s_mul_u64 s[44:45], s[12:13], s[22:23]
	s_mul_u64 s[46:47], s[6:7], s[22:23]
	s_lshl_b64 s[22:23], s[42:43], 2
	s_mul_u64 s[42:43], s[36:37], s[24:25]
	s_add_nc_u64 s[22:23], s[16:17], s[22:23]
	s_mul_u64 s[48:49], s[8:9], s[24:25]
	s_lshl_b64 s[42:43], s[42:43], 2
	s_mul_u64 s[24:25], s[14:15], s[24:25]
	s_add_nc_u64 s[22:23], s[22:23], s[42:43]
	s_add_nc_u64 s[42:43], s[46:47], s[48:49]
	;; [unrolled: 1-line block ×3, first 2 shown]
	v_add_nc_u64_e32 v[6:7], s[42:43], v[2:3]
	v_add_nc_u64_e32 v[8:9], s[24:25], v[4:5]
	s_mul_i32 s28, s28, s33
	s_mov_b64 s[42:43], 0
	s_lshl_b64 s[24:25], s[28:29], 1
	s_mov_b32 s44, 0
.LBB20_5:                               ;   Parent Loop BB20_3 Depth=1
                                        ; =>  This Inner Loop Header: Depth=2
	global_load_b32 v12, v1, s[22:23]
	v_add_nc_u64_e32 v[10:11], s[28:29], v[10:11]
	s_delay_alu instid0(VALU_DEP_1) | instskip(SKIP_3) | instid1(VALU_DEP_1)
	v_cmp_le_i64_e32 vcc_lo, s[26:27], v[10:11]
	s_or_b32 s44, vcc_lo, s44
	s_wait_loadcnt 0x0
	v_ashrrev_i32_e32 v13, 31, v12
	v_mul_u64_e32 v[12:13], s[10:11], v[12:13]
	s_delay_alu instid0(VALU_DEP_1) | instskip(NEXT) | instid1(VALU_DEP_1)
	v_add_nc_u64_e32 v[12:13], s[42:43], v[12:13]
	v_add_nc_u64_e32 v[12:13], v[8:9], v[12:13]
	global_load_u16 v14, v[12:13], off
	s_wait_xcnt 0x0
	v_add_nc_u64_e32 v[12:13], s[42:43], v[6:7]
	s_add_nc_u64 s[42:43], s[42:43], s[24:25]
	s_wait_loadcnt 0x0
	global_store_b16 v[12:13], v14, off
	s_wait_xcnt 0x0
	s_and_not1_b32 exec_lo, exec_lo, s44
	s_cbranch_execnz .LBB20_5
	s_branch .LBB20_2
.LBB20_6:
	s_endpgm
	.section	.rodata,"a",@progbits
	.p2align	6, 0x0
	.amdhsa_kernel _ZL16k_get_rows_floatI6__halfS0_EvPKT_PKiPT0_ll15HIP_vector_typeIjLj3EEmmmmmmmmm
		.amdhsa_group_segment_fixed_size 0
		.amdhsa_private_segment_fixed_size 0
		.amdhsa_kernarg_size 384
		.amdhsa_user_sgpr_count 2
		.amdhsa_user_sgpr_dispatch_ptr 0
		.amdhsa_user_sgpr_queue_ptr 0
		.amdhsa_user_sgpr_kernarg_segment_ptr 1
		.amdhsa_user_sgpr_dispatch_id 0
		.amdhsa_user_sgpr_kernarg_preload_length 0
		.amdhsa_user_sgpr_kernarg_preload_offset 0
		.amdhsa_user_sgpr_private_segment_size 0
		.amdhsa_wavefront_size32 1
		.amdhsa_uses_dynamic_stack 0
		.amdhsa_enable_private_segment 0
		.amdhsa_system_sgpr_workgroup_id_x 1
		.amdhsa_system_sgpr_workgroup_id_y 1
		.amdhsa_system_sgpr_workgroup_id_z 1
		.amdhsa_system_sgpr_workgroup_info 0
		.amdhsa_system_vgpr_workitem_id 0
		.amdhsa_next_free_vgpr 15
		.amdhsa_next_free_sgpr 50
		.amdhsa_named_barrier_count 0
		.amdhsa_reserve_vcc 1
		.amdhsa_float_round_mode_32 0
		.amdhsa_float_round_mode_16_64 0
		.amdhsa_float_denorm_mode_32 3
		.amdhsa_float_denorm_mode_16_64 3
		.amdhsa_fp16_overflow 0
		.amdhsa_memory_ordered 1
		.amdhsa_forward_progress 1
		.amdhsa_inst_pref_size 5
		.amdhsa_round_robin_scheduling 0
		.amdhsa_exception_fp_ieee_invalid_op 0
		.amdhsa_exception_fp_denorm_src 0
		.amdhsa_exception_fp_ieee_div_zero 0
		.amdhsa_exception_fp_ieee_overflow 0
		.amdhsa_exception_fp_ieee_underflow 0
		.amdhsa_exception_fp_ieee_inexact 0
		.amdhsa_exception_int_div_zero 0
	.end_amdhsa_kernel
	.section	.text._ZL16k_get_rows_floatI6__halfS0_EvPKT_PKiPT0_ll15HIP_vector_typeIjLj3EEmmmmmmmmm,"axG",@progbits,_ZL16k_get_rows_floatI6__halfS0_EvPKT_PKiPT0_ll15HIP_vector_typeIjLj3EEmmmmmmmmm,comdat
.Lfunc_end20:
	.size	_ZL16k_get_rows_floatI6__halfS0_EvPKT_PKiPT0_ll15HIP_vector_typeIjLj3EEmmmmmmmmm, .Lfunc_end20-_ZL16k_get_rows_floatI6__halfS0_EvPKT_PKiPT0_ll15HIP_vector_typeIjLj3EEmmmmmmmmm
                                        ; -- End function
	.set _ZL16k_get_rows_floatI6__halfS0_EvPKT_PKiPT0_ll15HIP_vector_typeIjLj3EEmmmmmmmmm.num_vgpr, 15
	.set _ZL16k_get_rows_floatI6__halfS0_EvPKT_PKiPT0_ll15HIP_vector_typeIjLj3EEmmmmmmmmm.num_agpr, 0
	.set _ZL16k_get_rows_floatI6__halfS0_EvPKT_PKiPT0_ll15HIP_vector_typeIjLj3EEmmmmmmmmm.numbered_sgpr, 50
	.set _ZL16k_get_rows_floatI6__halfS0_EvPKT_PKiPT0_ll15HIP_vector_typeIjLj3EEmmmmmmmmm.num_named_barrier, 0
	.set _ZL16k_get_rows_floatI6__halfS0_EvPKT_PKiPT0_ll15HIP_vector_typeIjLj3EEmmmmmmmmm.private_seg_size, 0
	.set _ZL16k_get_rows_floatI6__halfS0_EvPKT_PKiPT0_ll15HIP_vector_typeIjLj3EEmmmmmmmmm.uses_vcc, 1
	.set _ZL16k_get_rows_floatI6__halfS0_EvPKT_PKiPT0_ll15HIP_vector_typeIjLj3EEmmmmmmmmm.uses_flat_scratch, 0
	.set _ZL16k_get_rows_floatI6__halfS0_EvPKT_PKiPT0_ll15HIP_vector_typeIjLj3EEmmmmmmmmm.has_dyn_sized_stack, 0
	.set _ZL16k_get_rows_floatI6__halfS0_EvPKT_PKiPT0_ll15HIP_vector_typeIjLj3EEmmmmmmmmm.has_recursion, 0
	.set _ZL16k_get_rows_floatI6__halfS0_EvPKT_PKiPT0_ll15HIP_vector_typeIjLj3EEmmmmmmmmm.has_indirect_call, 0
	.section	.AMDGPU.csdata,"",@progbits
; Kernel info:
; codeLenInByte = 612
; TotalNumSgprs: 52
; NumVgprs: 15
; ScratchSize: 0
; MemoryBound: 0
; FloatMode: 240
; IeeeMode: 1
; LDSByteSize: 0 bytes/workgroup (compile time only)
; SGPRBlocks: 0
; VGPRBlocks: 0
; NumSGPRsForWavesPerEU: 52
; NumVGPRsForWavesPerEU: 15
; NamedBarCnt: 0
; Occupancy: 16
; WaveLimiterHint : 1
; COMPUTE_PGM_RSRC2:SCRATCH_EN: 0
; COMPUTE_PGM_RSRC2:USER_SGPR: 2
; COMPUTE_PGM_RSRC2:TRAP_HANDLER: 0
; COMPUTE_PGM_RSRC2:TGID_X_EN: 1
; COMPUTE_PGM_RSRC2:TGID_Y_EN: 1
; COMPUTE_PGM_RSRC2:TGID_Z_EN: 1
; COMPUTE_PGM_RSRC2:TIDIG_COMP_CNT: 0
	.section	.text._ZL16k_get_rows_floatIf6__halfEvPKT_PKiPT0_ll15HIP_vector_typeIjLj3EEmmmmmmmmm,"axG",@progbits,_ZL16k_get_rows_floatIf6__halfEvPKT_PKiPT0_ll15HIP_vector_typeIjLj3EEmmmmmmmmm,comdat
	.globl	_ZL16k_get_rows_floatIf6__halfEvPKT_PKiPT0_ll15HIP_vector_typeIjLj3EEmmmmmmmmm ; -- Begin function _ZL16k_get_rows_floatIf6__halfEvPKT_PKiPT0_ll15HIP_vector_typeIjLj3EEmmmmmmmmm
	.p2align	8
	.type	_ZL16k_get_rows_floatIf6__halfEvPKT_PKiPT0_ll15HIP_vector_typeIjLj3EEmmmmmmmmm,@function
_ZL16k_get_rows_floatIf6__halfEvPKT_PKiPT0_ll15HIP_vector_typeIjLj3EEmmmmmmmmm: ; @_ZL16k_get_rows_floatIf6__halfEvPKT_PKiPT0_ll15HIP_vector_typeIjLj3EEmmmmmmmmm
; %bb.0:
	s_clause 0x1
	s_load_b64 s[2:3], s[0:1], 0x2c
	s_load_b64 s[4:5], s[0:1], 0x20
	s_bfe_u32 s6, ttmp6, 0x40014
	s_lshr_b32 s8, ttmp7, 16
	s_add_co_i32 s6, s6, 1
	s_bfe_u32 s7, ttmp6, 0x40008
	s_mul_i32 s6, s8, s6
	s_mov_b32 s29, 0
	s_getreg_b32 s39, hwreg(HW_REG_IB_STS2, 6, 4)
	s_add_co_i32 s9, s7, s6
	s_cmp_eq_u32 s39, 0
	s_mov_b32 s7, s29
	s_cselect_b32 s28, s8, s9
	s_wait_kmcnt 0x0
	s_mov_b32 s6, s3
	s_delay_alu instid0(SALU_CYCLE_1) | instskip(NEXT) | instid1(SALU_CYCLE_1)
	s_mul_u64 s[30:31], s[4:5], s[6:7]
	v_cmp_le_i64_e64 s4, s[30:31], s[28:29]
	s_and_b32 vcc_lo, exec_lo, s4
	s_cbranch_vccnz .LBB21_6
; %bb.1:
	s_clause 0x4
	s_load_b64 s[34:35], s[0:1], 0x88
	s_load_b64 s[36:37], s[0:1], 0x78
	s_load_b256 s[20:27], s[0:1], 0x0
	s_load_b32 s38, s[0:1], 0x28
	s_load_b512 s[4:19], s[0:1], 0x38
	s_bfe_u32 s40, ttmp6, 0x4000c
	s_bfe_u32 s42, ttmp6, 0x40010
	s_and_b32 s41, ttmp7, 0xffff
	s_add_co_i32 s40, s40, 1
	s_add_co_i32 s42, s42, 1
	s_and_b32 s33, ttmp6, 15
	s_bfe_u32 s43, ttmp6, 0x40004
	s_mul_i32 s40, ttmp9, s40
	s_mul_i32 s42, s41, s42
	s_add_co_i32 s44, s33, s40
	s_add_co_i32 s43, s43, s42
	v_mov_b32_e32 v1, 0
	s_wait_kmcnt 0x0
	s_and_b32 s33, s35, 0xffff
	s_cmp_eq_u32 s39, 0
	s_mov_b32 s39, s29
	s_cselect_b32 s35, s41, s43
	s_add_nc_u64 s[40:41], s[0:1], 0x80
	v_mad_u32 v0, s35, s33, v0
	s_cselect_b32 s0, ttmp9, s44
	s_mov_b32 s35, s29
	s_ashr_i32 s1, s0, 31
	s_lshl_b64 s[6:7], s[6:7], 1
	s_mul_u64 s[16:17], s[16:17], s[0:1]
	s_mul_u64 s[0:1], s[4:5], s[0:1]
	s_lshl_b64 s[4:5], s[16:17], 2
	s_lshl_b64 s[0:1], s[0:1], 1
	s_add_nc_u64 s[4:5], s[22:23], s[4:5]
	s_add_nc_u64 s[22:23], s[24:25], s[0:1]
	v_cmp_gt_i64_e64 s0, s[26:27], v[0:1]
	v_lshl_add_u64 v[2:3], v[0:1], 1, s[22:23]
	v_lshl_add_u64 v[4:5], v[0:1], 2, s[20:21]
	s_mov_b64 s[16:17], 0xffffffff
	s_lshl_b64 s[8:9], s[8:9], 1
	s_mov_b64 s[20:21], s[28:29]
	s_branch .LBB21_3
.LBB21_2:                               ;   in Loop: Header=BB21_3 Depth=1
	s_or_b32 exec_lo, exec_lo, s1
	s_add_nc_u64 s[20:21], s[20:21], s[34:35]
	s_delay_alu instid0(SALU_CYCLE_1)
	v_cmp_lt_i64_e64 s1, s[20:21], s[30:31]
	s_and_b32 vcc_lo, exec_lo, s1
	s_cbranch_vccz .LBB21_6
.LBB21_3:                               ; =>This Loop Header: Depth=1
                                        ;     Child Loop BB21_5 Depth 2
	s_and_saveexec_b32 s1, s0
	s_cbranch_execz .LBB21_2
; %bb.4:                                ;   in Loop: Header=BB21_3 Depth=1
	s_and_b64 s[22:23], s[20:21], s[16:17]
	s_load_b32 s28, s[40:41], 0x4
	s_mul_u64 s[22:23], s[22:23], s[38:39]
	v_mov_b64_e32 v[10:11], v[0:1]
	s_add_co_i32 s22, s23, s20
	s_delay_alu instid0(SALU_CYCLE_1) | instskip(NEXT) | instid1(SALU_CYCLE_1)
	s_lshr_b32 s22, s22, s2
	s_mul_i32 s24, s22, s3
	s_ashr_i32 s23, s22, 31
	s_sub_co_i32 s24, s20, s24
	s_mul_u64 s[42:43], s[18:19], s[22:23]
	s_ashr_i32 s25, s24, 31
	s_mul_u64 s[44:45], s[12:13], s[22:23]
	s_mul_u64 s[46:47], s[6:7], s[22:23]
	s_lshl_b64 s[22:23], s[42:43], 2
	s_mul_u64 s[42:43], s[36:37], s[24:25]
	s_add_nc_u64 s[22:23], s[4:5], s[22:23]
	s_mul_u64 s[48:49], s[8:9], s[24:25]
	s_lshl_b64 s[42:43], s[42:43], 2
	s_mul_u64 s[24:25], s[14:15], s[24:25]
	s_add_nc_u64 s[22:23], s[22:23], s[42:43]
	s_add_nc_u64 s[42:43], s[46:47], s[48:49]
	;; [unrolled: 1-line block ×3, first 2 shown]
	v_add_nc_u64_e32 v[6:7], s[42:43], v[2:3]
	v_add_nc_u64_e32 v[8:9], s[24:25], v[4:5]
	s_wait_kmcnt 0x0
	s_mul_i32 s28, s28, s33
	s_mov_b32 s44, 0
	s_lshl_b64 s[24:25], s[28:29], 1
	s_lshl_b64 s[42:43], s[28:29], 2
.LBB21_5:                               ;   Parent Loop BB21_3 Depth=1
                                        ; =>  This Inner Loop Header: Depth=2
	global_load_b32 v12, v1, s[22:23]
	v_add_nc_u64_e32 v[10:11], s[28:29], v[10:11]
	s_delay_alu instid0(VALU_DEP_1)
	v_cmp_le_i64_e32 vcc_lo, s[26:27], v[10:11]
	s_or_b32 s44, vcc_lo, s44
	s_wait_loadcnt 0x0
	v_ashrrev_i32_e32 v14, 31, v12
	v_mul_lo_u32 v15, s11, v12
	v_mad_nc_u64_u32 v[12:13], s10, v12, v[8:9]
	v_add_nc_u64_e32 v[8:9], s[42:43], v[8:9]
	s_delay_alu instid0(VALU_DEP_4) | instskip(NEXT) | instid1(VALU_DEP_1)
	v_mul_lo_u32 v14, s10, v14
	v_add3_u32 v13, v14, v15, v13
	global_load_b32 v12, v[12:13], off
	s_wait_loadcnt 0x0
	s_wait_xcnt 0x0
	v_cvt_f16_f32_e32 v12, v12
	global_store_b16 v[6:7], v12, off
	s_wait_xcnt 0x0
	v_add_nc_u64_e32 v[6:7], s[24:25], v[6:7]
	s_and_not1_b32 exec_lo, exec_lo, s44
	s_cbranch_execnz .LBB21_5
	s_branch .LBB21_2
.LBB21_6:
	s_endpgm
	.section	.rodata,"a",@progbits
	.p2align	6, 0x0
	.amdhsa_kernel _ZL16k_get_rows_floatIf6__halfEvPKT_PKiPT0_ll15HIP_vector_typeIjLj3EEmmmmmmmmm
		.amdhsa_group_segment_fixed_size 0
		.amdhsa_private_segment_fixed_size 0
		.amdhsa_kernarg_size 384
		.amdhsa_user_sgpr_count 2
		.amdhsa_user_sgpr_dispatch_ptr 0
		.amdhsa_user_sgpr_queue_ptr 0
		.amdhsa_user_sgpr_kernarg_segment_ptr 1
		.amdhsa_user_sgpr_dispatch_id 0
		.amdhsa_user_sgpr_kernarg_preload_length 0
		.amdhsa_user_sgpr_kernarg_preload_offset 0
		.amdhsa_user_sgpr_private_segment_size 0
		.amdhsa_wavefront_size32 1
		.amdhsa_uses_dynamic_stack 0
		.amdhsa_enable_private_segment 0
		.amdhsa_system_sgpr_workgroup_id_x 1
		.amdhsa_system_sgpr_workgroup_id_y 1
		.amdhsa_system_sgpr_workgroup_id_z 1
		.amdhsa_system_sgpr_workgroup_info 0
		.amdhsa_system_vgpr_workitem_id 0
		.amdhsa_next_free_vgpr 16
		.amdhsa_next_free_sgpr 50
		.amdhsa_named_barrier_count 0
		.amdhsa_reserve_vcc 1
		.amdhsa_float_round_mode_32 0
		.amdhsa_float_round_mode_16_64 0
		.amdhsa_float_denorm_mode_32 3
		.amdhsa_float_denorm_mode_16_64 3
		.amdhsa_fp16_overflow 0
		.amdhsa_memory_ordered 1
		.amdhsa_forward_progress 1
		.amdhsa_inst_pref_size 5
		.amdhsa_round_robin_scheduling 0
		.amdhsa_exception_fp_ieee_invalid_op 0
		.amdhsa_exception_fp_denorm_src 0
		.amdhsa_exception_fp_ieee_div_zero 0
		.amdhsa_exception_fp_ieee_overflow 0
		.amdhsa_exception_fp_ieee_underflow 0
		.amdhsa_exception_fp_ieee_inexact 0
		.amdhsa_exception_int_div_zero 0
	.end_amdhsa_kernel
	.section	.text._ZL16k_get_rows_floatIf6__halfEvPKT_PKiPT0_ll15HIP_vector_typeIjLj3EEmmmmmmmmm,"axG",@progbits,_ZL16k_get_rows_floatIf6__halfEvPKT_PKiPT0_ll15HIP_vector_typeIjLj3EEmmmmmmmmm,comdat
.Lfunc_end21:
	.size	_ZL16k_get_rows_floatIf6__halfEvPKT_PKiPT0_ll15HIP_vector_typeIjLj3EEmmmmmmmmm, .Lfunc_end21-_ZL16k_get_rows_floatIf6__halfEvPKT_PKiPT0_ll15HIP_vector_typeIjLj3EEmmmmmmmmm
                                        ; -- End function
	.set _ZL16k_get_rows_floatIf6__halfEvPKT_PKiPT0_ll15HIP_vector_typeIjLj3EEmmmmmmmmm.num_vgpr, 16
	.set _ZL16k_get_rows_floatIf6__halfEvPKT_PKiPT0_ll15HIP_vector_typeIjLj3EEmmmmmmmmm.num_agpr, 0
	.set _ZL16k_get_rows_floatIf6__halfEvPKT_PKiPT0_ll15HIP_vector_typeIjLj3EEmmmmmmmmm.numbered_sgpr, 50
	.set _ZL16k_get_rows_floatIf6__halfEvPKT_PKiPT0_ll15HIP_vector_typeIjLj3EEmmmmmmmmm.num_named_barrier, 0
	.set _ZL16k_get_rows_floatIf6__halfEvPKT_PKiPT0_ll15HIP_vector_typeIjLj3EEmmmmmmmmm.private_seg_size, 0
	.set _ZL16k_get_rows_floatIf6__halfEvPKT_PKiPT0_ll15HIP_vector_typeIjLj3EEmmmmmmmmm.uses_vcc, 1
	.set _ZL16k_get_rows_floatIf6__halfEvPKT_PKiPT0_ll15HIP_vector_typeIjLj3EEmmmmmmmmm.uses_flat_scratch, 0
	.set _ZL16k_get_rows_floatIf6__halfEvPKT_PKiPT0_ll15HIP_vector_typeIjLj3EEmmmmmmmmm.has_dyn_sized_stack, 0
	.set _ZL16k_get_rows_floatIf6__halfEvPKT_PKiPT0_ll15HIP_vector_typeIjLj3EEmmmmmmmmm.has_recursion, 0
	.set _ZL16k_get_rows_floatIf6__halfEvPKT_PKiPT0_ll15HIP_vector_typeIjLj3EEmmmmmmmmm.has_indirect_call, 0
	.section	.AMDGPU.csdata,"",@progbits
; Kernel info:
; codeLenInByte = 632
; TotalNumSgprs: 52
; NumVgprs: 16
; ScratchSize: 0
; MemoryBound: 0
; FloatMode: 240
; IeeeMode: 1
; LDSByteSize: 0 bytes/workgroup (compile time only)
; SGPRBlocks: 0
; VGPRBlocks: 0
; NumSGPRsForWavesPerEU: 52
; NumVGPRsForWavesPerEU: 16
; NamedBarCnt: 0
; Occupancy: 16
; WaveLimiterHint : 1
; COMPUTE_PGM_RSRC2:SCRATCH_EN: 0
; COMPUTE_PGM_RSRC2:USER_SGPR: 2
; COMPUTE_PGM_RSRC2:TRAP_HANDLER: 0
; COMPUTE_PGM_RSRC2:TGID_X_EN: 1
; COMPUTE_PGM_RSRC2:TGID_Y_EN: 1
; COMPUTE_PGM_RSRC2:TGID_Z_EN: 1
; COMPUTE_PGM_RSRC2:TIDIG_COMP_CNT: 0
	.section	.text._ZL16k_get_rows_floatIi6__halfEvPKT_PKiPT0_ll15HIP_vector_typeIjLj3EEmmmmmmmmm,"axG",@progbits,_ZL16k_get_rows_floatIi6__halfEvPKT_PKiPT0_ll15HIP_vector_typeIjLj3EEmmmmmmmmm,comdat
	.globl	_ZL16k_get_rows_floatIi6__halfEvPKT_PKiPT0_ll15HIP_vector_typeIjLj3EEmmmmmmmmm ; -- Begin function _ZL16k_get_rows_floatIi6__halfEvPKT_PKiPT0_ll15HIP_vector_typeIjLj3EEmmmmmmmmm
	.p2align	8
	.type	_ZL16k_get_rows_floatIi6__halfEvPKT_PKiPT0_ll15HIP_vector_typeIjLj3EEmmmmmmmmm,@function
_ZL16k_get_rows_floatIi6__halfEvPKT_PKiPT0_ll15HIP_vector_typeIjLj3EEmmmmmmmmm: ; @_ZL16k_get_rows_floatIi6__halfEvPKT_PKiPT0_ll15HIP_vector_typeIjLj3EEmmmmmmmmm
; %bb.0:
	s_clause 0x1
	s_load_b64 s[2:3], s[0:1], 0x2c
	s_load_b64 s[4:5], s[0:1], 0x20
	s_bfe_u32 s6, ttmp6, 0x40014
	s_lshr_b32 s8, ttmp7, 16
	s_add_co_i32 s6, s6, 1
	s_bfe_u32 s7, ttmp6, 0x40008
	s_mul_i32 s6, s8, s6
	s_mov_b32 s29, 0
	s_getreg_b32 s39, hwreg(HW_REG_IB_STS2, 6, 4)
	s_add_co_i32 s9, s7, s6
	s_cmp_eq_u32 s39, 0
	s_mov_b32 s7, s29
	s_cselect_b32 s28, s8, s9
	s_wait_kmcnt 0x0
	s_mov_b32 s6, s3
	s_delay_alu instid0(SALU_CYCLE_1) | instskip(NEXT) | instid1(SALU_CYCLE_1)
	s_mul_u64 s[30:31], s[4:5], s[6:7]
	v_cmp_le_i64_e64 s4, s[30:31], s[28:29]
	s_and_b32 vcc_lo, exec_lo, s4
	s_cbranch_vccnz .LBB22_6
; %bb.1:
	s_clause 0x4
	s_load_b64 s[34:35], s[0:1], 0x88
	s_load_b64 s[36:37], s[0:1], 0x78
	s_load_b256 s[20:27], s[0:1], 0x0
	s_load_b32 s38, s[0:1], 0x28
	s_load_b512 s[4:19], s[0:1], 0x38
	s_bfe_u32 s40, ttmp6, 0x4000c
	s_bfe_u32 s42, ttmp6, 0x40010
	s_and_b32 s41, ttmp7, 0xffff
	s_add_co_i32 s40, s40, 1
	s_add_co_i32 s42, s42, 1
	s_and_b32 s33, ttmp6, 15
	s_bfe_u32 s43, ttmp6, 0x40004
	s_mul_i32 s40, ttmp9, s40
	s_mul_i32 s42, s41, s42
	s_add_co_i32 s44, s33, s40
	s_add_co_i32 s43, s43, s42
	v_mov_b32_e32 v1, 0
	s_wait_kmcnt 0x0
	s_and_b32 s33, s35, 0xffff
	s_cmp_eq_u32 s39, 0
	s_mov_b32 s39, s29
	s_cselect_b32 s35, s41, s43
	s_add_nc_u64 s[40:41], s[0:1], 0x80
	v_mad_u32 v0, s35, s33, v0
	s_cselect_b32 s0, ttmp9, s44
	s_mov_b32 s35, s29
	s_ashr_i32 s1, s0, 31
	s_lshl_b64 s[6:7], s[6:7], 1
	s_mul_u64 s[16:17], s[16:17], s[0:1]
	s_mul_u64 s[0:1], s[4:5], s[0:1]
	s_lshl_b64 s[4:5], s[16:17], 2
	s_lshl_b64 s[0:1], s[0:1], 1
	s_add_nc_u64 s[4:5], s[22:23], s[4:5]
	s_add_nc_u64 s[22:23], s[24:25], s[0:1]
	v_cmp_gt_i64_e64 s0, s[26:27], v[0:1]
	v_lshl_add_u64 v[2:3], v[0:1], 1, s[22:23]
	v_lshl_add_u64 v[4:5], v[0:1], 2, s[20:21]
	s_mov_b64 s[16:17], 0xffffffff
	s_lshl_b64 s[8:9], s[8:9], 1
	s_mov_b64 s[20:21], s[28:29]
	s_branch .LBB22_3
.LBB22_2:                               ;   in Loop: Header=BB22_3 Depth=1
	s_or_b32 exec_lo, exec_lo, s1
	s_add_nc_u64 s[20:21], s[20:21], s[34:35]
	s_delay_alu instid0(SALU_CYCLE_1)
	v_cmp_lt_i64_e64 s1, s[20:21], s[30:31]
	s_and_b32 vcc_lo, exec_lo, s1
	s_cbranch_vccz .LBB22_6
.LBB22_3:                               ; =>This Loop Header: Depth=1
                                        ;     Child Loop BB22_5 Depth 2
	s_and_saveexec_b32 s1, s0
	s_cbranch_execz .LBB22_2
; %bb.4:                                ;   in Loop: Header=BB22_3 Depth=1
	s_and_b64 s[22:23], s[20:21], s[16:17]
	s_load_b32 s28, s[40:41], 0x4
	s_mul_u64 s[22:23], s[22:23], s[38:39]
	v_mov_b64_e32 v[10:11], v[0:1]
	s_add_co_i32 s22, s23, s20
	s_delay_alu instid0(SALU_CYCLE_1) | instskip(NEXT) | instid1(SALU_CYCLE_1)
	s_lshr_b32 s22, s22, s2
	s_mul_i32 s24, s22, s3
	s_ashr_i32 s23, s22, 31
	s_sub_co_i32 s24, s20, s24
	s_mul_u64 s[42:43], s[18:19], s[22:23]
	s_ashr_i32 s25, s24, 31
	s_mul_u64 s[44:45], s[12:13], s[22:23]
	s_mul_u64 s[46:47], s[6:7], s[22:23]
	s_lshl_b64 s[22:23], s[42:43], 2
	s_mul_u64 s[42:43], s[36:37], s[24:25]
	s_add_nc_u64 s[22:23], s[4:5], s[22:23]
	s_mul_u64 s[48:49], s[8:9], s[24:25]
	s_lshl_b64 s[42:43], s[42:43], 2
	s_mul_u64 s[24:25], s[14:15], s[24:25]
	s_add_nc_u64 s[22:23], s[22:23], s[42:43]
	s_add_nc_u64 s[42:43], s[46:47], s[48:49]
	;; [unrolled: 1-line block ×3, first 2 shown]
	v_add_nc_u64_e32 v[6:7], s[42:43], v[2:3]
	v_add_nc_u64_e32 v[8:9], s[24:25], v[4:5]
	s_wait_kmcnt 0x0
	s_mul_i32 s28, s28, s33
	s_mov_b32 s44, 0
	s_lshl_b64 s[24:25], s[28:29], 1
	s_lshl_b64 s[42:43], s[28:29], 2
.LBB22_5:                               ;   Parent Loop BB22_3 Depth=1
                                        ; =>  This Inner Loop Header: Depth=2
	global_load_b32 v12, v1, s[22:23]
	v_add_nc_u64_e32 v[10:11], s[28:29], v[10:11]
	s_delay_alu instid0(VALU_DEP_1)
	v_cmp_le_i64_e32 vcc_lo, s[26:27], v[10:11]
	s_or_b32 s44, vcc_lo, s44
	s_wait_loadcnt 0x0
	v_ashrrev_i32_e32 v14, 31, v12
	v_mul_lo_u32 v15, s11, v12
	v_mad_nc_u64_u32 v[12:13], s10, v12, v[8:9]
	v_add_nc_u64_e32 v[8:9], s[42:43], v[8:9]
	s_delay_alu instid0(VALU_DEP_4) | instskip(NEXT) | instid1(VALU_DEP_1)
	v_mul_lo_u32 v14, s10, v14
	v_add3_u32 v13, v14, v15, v13
	global_load_b32 v12, v[12:13], off
	s_wait_loadcnt 0x0
	s_wait_xcnt 0x0
	v_cvt_f32_i32_e32 v12, v12
	s_delay_alu instid0(VALU_DEP_1)
	v_cvt_f16_f32_e32 v12, v12
	global_store_b16 v[6:7], v12, off
	s_wait_xcnt 0x0
	v_add_nc_u64_e32 v[6:7], s[24:25], v[6:7]
	s_and_not1_b32 exec_lo, exec_lo, s44
	s_cbranch_execnz .LBB22_5
	s_branch .LBB22_2
.LBB22_6:
	s_endpgm
	.section	.rodata,"a",@progbits
	.p2align	6, 0x0
	.amdhsa_kernel _ZL16k_get_rows_floatIi6__halfEvPKT_PKiPT0_ll15HIP_vector_typeIjLj3EEmmmmmmmmm
		.amdhsa_group_segment_fixed_size 0
		.amdhsa_private_segment_fixed_size 0
		.amdhsa_kernarg_size 384
		.amdhsa_user_sgpr_count 2
		.amdhsa_user_sgpr_dispatch_ptr 0
		.amdhsa_user_sgpr_queue_ptr 0
		.amdhsa_user_sgpr_kernarg_segment_ptr 1
		.amdhsa_user_sgpr_dispatch_id 0
		.amdhsa_user_sgpr_kernarg_preload_length 0
		.amdhsa_user_sgpr_kernarg_preload_offset 0
		.amdhsa_user_sgpr_private_segment_size 0
		.amdhsa_wavefront_size32 1
		.amdhsa_uses_dynamic_stack 0
		.amdhsa_enable_private_segment 0
		.amdhsa_system_sgpr_workgroup_id_x 1
		.amdhsa_system_sgpr_workgroup_id_y 1
		.amdhsa_system_sgpr_workgroup_id_z 1
		.amdhsa_system_sgpr_workgroup_info 0
		.amdhsa_system_vgpr_workitem_id 0
		.amdhsa_next_free_vgpr 16
		.amdhsa_next_free_sgpr 50
		.amdhsa_named_barrier_count 0
		.amdhsa_reserve_vcc 1
		.amdhsa_float_round_mode_32 0
		.amdhsa_float_round_mode_16_64 0
		.amdhsa_float_denorm_mode_32 3
		.amdhsa_float_denorm_mode_16_64 3
		.amdhsa_fp16_overflow 0
		.amdhsa_memory_ordered 1
		.amdhsa_forward_progress 1
		.amdhsa_inst_pref_size 5
		.amdhsa_round_robin_scheduling 0
		.amdhsa_exception_fp_ieee_invalid_op 0
		.amdhsa_exception_fp_denorm_src 0
		.amdhsa_exception_fp_ieee_div_zero 0
		.amdhsa_exception_fp_ieee_overflow 0
		.amdhsa_exception_fp_ieee_underflow 0
		.amdhsa_exception_fp_ieee_inexact 0
		.amdhsa_exception_int_div_zero 0
	.end_amdhsa_kernel
	.section	.text._ZL16k_get_rows_floatIi6__halfEvPKT_PKiPT0_ll15HIP_vector_typeIjLj3EEmmmmmmmmm,"axG",@progbits,_ZL16k_get_rows_floatIi6__halfEvPKT_PKiPT0_ll15HIP_vector_typeIjLj3EEmmmmmmmmm,comdat
.Lfunc_end22:
	.size	_ZL16k_get_rows_floatIi6__halfEvPKT_PKiPT0_ll15HIP_vector_typeIjLj3EEmmmmmmmmm, .Lfunc_end22-_ZL16k_get_rows_floatIi6__halfEvPKT_PKiPT0_ll15HIP_vector_typeIjLj3EEmmmmmmmmm
                                        ; -- End function
	.set _ZL16k_get_rows_floatIi6__halfEvPKT_PKiPT0_ll15HIP_vector_typeIjLj3EEmmmmmmmmm.num_vgpr, 16
	.set _ZL16k_get_rows_floatIi6__halfEvPKT_PKiPT0_ll15HIP_vector_typeIjLj3EEmmmmmmmmm.num_agpr, 0
	.set _ZL16k_get_rows_floatIi6__halfEvPKT_PKiPT0_ll15HIP_vector_typeIjLj3EEmmmmmmmmm.numbered_sgpr, 50
	.set _ZL16k_get_rows_floatIi6__halfEvPKT_PKiPT0_ll15HIP_vector_typeIjLj3EEmmmmmmmmm.num_named_barrier, 0
	.set _ZL16k_get_rows_floatIi6__halfEvPKT_PKiPT0_ll15HIP_vector_typeIjLj3EEmmmmmmmmm.private_seg_size, 0
	.set _ZL16k_get_rows_floatIi6__halfEvPKT_PKiPT0_ll15HIP_vector_typeIjLj3EEmmmmmmmmm.uses_vcc, 1
	.set _ZL16k_get_rows_floatIi6__halfEvPKT_PKiPT0_ll15HIP_vector_typeIjLj3EEmmmmmmmmm.uses_flat_scratch, 0
	.set _ZL16k_get_rows_floatIi6__halfEvPKT_PKiPT0_ll15HIP_vector_typeIjLj3EEmmmmmmmmm.has_dyn_sized_stack, 0
	.set _ZL16k_get_rows_floatIi6__halfEvPKT_PKiPT0_ll15HIP_vector_typeIjLj3EEmmmmmmmmm.has_recursion, 0
	.set _ZL16k_get_rows_floatIi6__halfEvPKT_PKiPT0_ll15HIP_vector_typeIjLj3EEmmmmmmmmm.has_indirect_call, 0
	.section	.AMDGPU.csdata,"",@progbits
; Kernel info:
; codeLenInByte = 640
; TotalNumSgprs: 52
; NumVgprs: 16
; ScratchSize: 0
; MemoryBound: 0
; FloatMode: 240
; IeeeMode: 1
; LDSByteSize: 0 bytes/workgroup (compile time only)
; SGPRBlocks: 0
; VGPRBlocks: 0
; NumSGPRsForWavesPerEU: 52
; NumVGPRsForWavesPerEU: 16
; NamedBarCnt: 0
; Occupancy: 16
; WaveLimiterHint : 1
; COMPUTE_PGM_RSRC2:SCRATCH_EN: 0
; COMPUTE_PGM_RSRC2:USER_SGPR: 2
; COMPUTE_PGM_RSRC2:TRAP_HANDLER: 0
; COMPUTE_PGM_RSRC2:TGID_X_EN: 1
; COMPUTE_PGM_RSRC2:TGID_Y_EN: 1
; COMPUTE_PGM_RSRC2:TGID_Z_EN: 1
; COMPUTE_PGM_RSRC2:TIDIG_COMP_CNT: 0
	.section	.text._ZL16k_get_rows_floatI14__hip_bfloat166__halfEvPKT_PKiPT0_ll15HIP_vector_typeIjLj3EEmmmmmmmmm,"axG",@progbits,_ZL16k_get_rows_floatI14__hip_bfloat166__halfEvPKT_PKiPT0_ll15HIP_vector_typeIjLj3EEmmmmmmmmm,comdat
	.globl	_ZL16k_get_rows_floatI14__hip_bfloat166__halfEvPKT_PKiPT0_ll15HIP_vector_typeIjLj3EEmmmmmmmmm ; -- Begin function _ZL16k_get_rows_floatI14__hip_bfloat166__halfEvPKT_PKiPT0_ll15HIP_vector_typeIjLj3EEmmmmmmmmm
	.p2align	8
	.type	_ZL16k_get_rows_floatI14__hip_bfloat166__halfEvPKT_PKiPT0_ll15HIP_vector_typeIjLj3EEmmmmmmmmm,@function
_ZL16k_get_rows_floatI14__hip_bfloat166__halfEvPKT_PKiPT0_ll15HIP_vector_typeIjLj3EEmmmmmmmmm: ; @_ZL16k_get_rows_floatI14__hip_bfloat166__halfEvPKT_PKiPT0_ll15HIP_vector_typeIjLj3EEmmmmmmmmm
; %bb.0:
	s_clause 0x1
	s_load_b64 s[2:3], s[0:1], 0x2c
	s_load_b64 s[4:5], s[0:1], 0x20
	s_bfe_u32 s6, ttmp6, 0x40014
	s_lshr_b32 s8, ttmp7, 16
	s_add_co_i32 s6, s6, 1
	s_bfe_u32 s7, ttmp6, 0x40008
	s_mul_i32 s6, s8, s6
	s_mov_b32 s29, 0
	s_getreg_b32 s36, hwreg(HW_REG_IB_STS2, 6, 4)
	s_add_co_i32 s9, s7, s6
	s_cmp_eq_u32 s36, 0
	s_mov_b32 s7, s29
	s_cselect_b32 s28, s8, s9
	s_wait_kmcnt 0x0
	s_mov_b32 s6, s3
	s_delay_alu instid0(SALU_CYCLE_1) | instskip(NEXT) | instid1(SALU_CYCLE_1)
	s_mul_u64 s[30:31], s[4:5], s[6:7]
	v_cmp_le_i64_e64 s4, s[30:31], s[28:29]
	s_and_b32 vcc_lo, exec_lo, s4
	s_cbranch_vccnz .LBB23_6
; %bb.1:
	s_clause 0x2
	s_load_b64 s[34:35], s[0:1], 0x88
	s_load_b256 s[20:27], s[0:1], 0x0
	s_load_b512 s[4:19], s[0:1], 0x38
	s_bfe_u32 s37, ttmp6, 0x4000c
	s_bfe_u32 s39, ttmp6, 0x40010
	s_and_b32 s38, ttmp7, 0xffff
	s_add_co_i32 s37, s37, 1
	s_add_co_i32 s39, s39, 1
	s_and_b32 s33, ttmp6, 15
	s_bfe_u32 s40, ttmp6, 0x40004
	s_mul_i32 s37, ttmp9, s37
	s_mul_i32 s39, s38, s39
	s_add_co_i32 s41, s33, s37
	s_add_co_i32 s40, s40, s39
	v_mov_b32_e32 v1, 0
	s_mov_b32 s39, s29
	s_wait_kmcnt 0x0
	s_and_b32 s33, s35, 0xffff
	s_cmp_eq_u32 s36, 0
	s_cselect_b32 s35, s38, s40
	s_clause 0x1
	s_load_b64 s[36:37], s[0:1], 0x78
	s_load_b32 s38, s[0:1], 0x28
	v_mad_u32 v0, s35, s33, v0
	s_cselect_b32 s42, ttmp9, s41
	s_add_nc_u64 s[40:41], s[0:1], 0x80
	s_ashr_i32 s43, s42, 31
	s_mov_b32 s35, s29
	s_wait_xcnt 0x0
	s_mul_u64 s[0:1], s[4:5], s[42:43]
	s_mul_u64 s[4:5], s[16:17], s[42:43]
	s_lshl_b64 s[0:1], s[0:1], 1
	s_lshl_b64 s[16:17], s[4:5], 2
	s_add_nc_u64 s[4:5], s[24:25], s[0:1]
	s_add_nc_u64 s[16:17], s[22:23], s[16:17]
	v_lshlrev_b64_e32 v[4:5], 1, v[0:1]
	v_cmp_gt_i64_e64 s0, s[26:27], v[0:1]
	s_lshl_b64 s[6:7], s[6:7], 1
	s_lshl_b64 s[8:9], s[8:9], 1
	v_add_nc_u64_e32 v[2:3], s[4:5], v[4:5]
	v_add_nc_u64_e32 v[4:5], s[20:21], v[4:5]
	s_mov_b64 s[4:5], 0xffffffff
	s_mov_b64 s[20:21], s[28:29]
	s_branch .LBB23_3
.LBB23_2:                               ;   in Loop: Header=BB23_3 Depth=1
	s_or_b32 exec_lo, exec_lo, s1
	s_add_nc_u64 s[20:21], s[20:21], s[34:35]
	s_delay_alu instid0(SALU_CYCLE_1)
	v_cmp_lt_i64_e64 s1, s[20:21], s[30:31]
	s_and_b32 vcc_lo, exec_lo, s1
	s_cbranch_vccz .LBB23_6
.LBB23_3:                               ; =>This Loop Header: Depth=1
                                        ;     Child Loop BB23_5 Depth 2
	s_and_saveexec_b32 s1, s0
	s_cbranch_execz .LBB23_2
; %bb.4:                                ;   in Loop: Header=BB23_3 Depth=1
	s_and_b64 s[22:23], s[20:21], s[4:5]
	s_load_b32 s28, s[40:41], 0x4
	s_wait_kmcnt 0x0
	s_mul_u64 s[22:23], s[22:23], s[38:39]
	v_mov_b64_e32 v[10:11], v[0:1]
	s_add_co_i32 s22, s23, s20
	s_delay_alu instid0(SALU_CYCLE_1) | instskip(NEXT) | instid1(SALU_CYCLE_1)
	s_lshr_b32 s22, s22, s2
	s_mul_i32 s24, s22, s3
	s_ashr_i32 s23, s22, 31
	s_sub_co_i32 s24, s20, s24
	s_mul_u64 s[42:43], s[18:19], s[22:23]
	s_ashr_i32 s25, s24, 31
	s_mul_u64 s[44:45], s[12:13], s[22:23]
	s_mul_u64 s[46:47], s[6:7], s[22:23]
	s_lshl_b64 s[22:23], s[42:43], 2
	s_mul_u64 s[42:43], s[36:37], s[24:25]
	s_add_nc_u64 s[22:23], s[16:17], s[22:23]
	s_mul_u64 s[48:49], s[8:9], s[24:25]
	s_lshl_b64 s[42:43], s[42:43], 2
	s_mul_u64 s[24:25], s[14:15], s[24:25]
	s_add_nc_u64 s[22:23], s[22:23], s[42:43]
	s_add_nc_u64 s[42:43], s[46:47], s[48:49]
	;; [unrolled: 1-line block ×3, first 2 shown]
	v_add_nc_u64_e32 v[6:7], s[42:43], v[2:3]
	v_add_nc_u64_e32 v[8:9], s[24:25], v[4:5]
	s_mul_i32 s28, s28, s33
	s_mov_b64 s[42:43], 0
	s_lshl_b64 s[24:25], s[28:29], 1
	s_mov_b32 s44, 0
.LBB23_5:                               ;   Parent Loop BB23_3 Depth=1
                                        ; =>  This Inner Loop Header: Depth=2
	global_load_b32 v12, v1, s[22:23]
	v_add_nc_u64_e32 v[10:11], s[28:29], v[10:11]
	s_delay_alu instid0(VALU_DEP_1) | instskip(SKIP_3) | instid1(VALU_DEP_1)
	v_cmp_le_i64_e32 vcc_lo, s[26:27], v[10:11]
	s_or_b32 s44, vcc_lo, s44
	s_wait_loadcnt 0x0
	v_ashrrev_i32_e32 v13, 31, v12
	v_mul_u64_e32 v[12:13], s[10:11], v[12:13]
	s_delay_alu instid0(VALU_DEP_1) | instskip(NEXT) | instid1(VALU_DEP_1)
	v_add_nc_u64_e32 v[12:13], s[42:43], v[12:13]
	v_add_nc_u64_e32 v[12:13], v[8:9], v[12:13]
	global_load_u16 v12, v[12:13], off
	s_wait_loadcnt 0x0
	v_lshlrev_b32_e32 v14, 16, v12
	s_wait_xcnt 0x0
	v_add_nc_u64_e32 v[12:13], s[42:43], v[6:7]
	s_add_nc_u64 s[42:43], s[42:43], s[24:25]
	s_delay_alu instid0(VALU_DEP_2)
	v_cvt_f16_f32_e32 v14, v14
	global_store_b16 v[12:13], v14, off
	s_wait_xcnt 0x0
	s_and_not1_b32 exec_lo, exec_lo, s44
	s_cbranch_execnz .LBB23_5
	s_branch .LBB23_2
.LBB23_6:
	s_endpgm
	.section	.rodata,"a",@progbits
	.p2align	6, 0x0
	.amdhsa_kernel _ZL16k_get_rows_floatI14__hip_bfloat166__halfEvPKT_PKiPT0_ll15HIP_vector_typeIjLj3EEmmmmmmmmm
		.amdhsa_group_segment_fixed_size 0
		.amdhsa_private_segment_fixed_size 0
		.amdhsa_kernarg_size 384
		.amdhsa_user_sgpr_count 2
		.amdhsa_user_sgpr_dispatch_ptr 0
		.amdhsa_user_sgpr_queue_ptr 0
		.amdhsa_user_sgpr_kernarg_segment_ptr 1
		.amdhsa_user_sgpr_dispatch_id 0
		.amdhsa_user_sgpr_kernarg_preload_length 0
		.amdhsa_user_sgpr_kernarg_preload_offset 0
		.amdhsa_user_sgpr_private_segment_size 0
		.amdhsa_wavefront_size32 1
		.amdhsa_uses_dynamic_stack 0
		.amdhsa_enable_private_segment 0
		.amdhsa_system_sgpr_workgroup_id_x 1
		.amdhsa_system_sgpr_workgroup_id_y 1
		.amdhsa_system_sgpr_workgroup_id_z 1
		.amdhsa_system_sgpr_workgroup_info 0
		.amdhsa_system_vgpr_workitem_id 0
		.amdhsa_next_free_vgpr 15
		.amdhsa_next_free_sgpr 50
		.amdhsa_named_barrier_count 0
		.amdhsa_reserve_vcc 1
		.amdhsa_float_round_mode_32 0
		.amdhsa_float_round_mode_16_64 0
		.amdhsa_float_denorm_mode_32 3
		.amdhsa_float_denorm_mode_16_64 3
		.amdhsa_fp16_overflow 0
		.amdhsa_memory_ordered 1
		.amdhsa_forward_progress 1
		.amdhsa_inst_pref_size 5
		.amdhsa_round_robin_scheduling 0
		.amdhsa_exception_fp_ieee_invalid_op 0
		.amdhsa_exception_fp_denorm_src 0
		.amdhsa_exception_fp_ieee_div_zero 0
		.amdhsa_exception_fp_ieee_overflow 0
		.amdhsa_exception_fp_ieee_underflow 0
		.amdhsa_exception_fp_ieee_inexact 0
		.amdhsa_exception_int_div_zero 0
	.end_amdhsa_kernel
	.section	.text._ZL16k_get_rows_floatI14__hip_bfloat166__halfEvPKT_PKiPT0_ll15HIP_vector_typeIjLj3EEmmmmmmmmm,"axG",@progbits,_ZL16k_get_rows_floatI14__hip_bfloat166__halfEvPKT_PKiPT0_ll15HIP_vector_typeIjLj3EEmmmmmmmmm,comdat
.Lfunc_end23:
	.size	_ZL16k_get_rows_floatI14__hip_bfloat166__halfEvPKT_PKiPT0_ll15HIP_vector_typeIjLj3EEmmmmmmmmm, .Lfunc_end23-_ZL16k_get_rows_floatI14__hip_bfloat166__halfEvPKT_PKiPT0_ll15HIP_vector_typeIjLj3EEmmmmmmmmm
                                        ; -- End function
	.set _ZL16k_get_rows_floatI14__hip_bfloat166__halfEvPKT_PKiPT0_ll15HIP_vector_typeIjLj3EEmmmmmmmmm.num_vgpr, 15
	.set _ZL16k_get_rows_floatI14__hip_bfloat166__halfEvPKT_PKiPT0_ll15HIP_vector_typeIjLj3EEmmmmmmmmm.num_agpr, 0
	.set _ZL16k_get_rows_floatI14__hip_bfloat166__halfEvPKT_PKiPT0_ll15HIP_vector_typeIjLj3EEmmmmmmmmm.numbered_sgpr, 50
	.set _ZL16k_get_rows_floatI14__hip_bfloat166__halfEvPKT_PKiPT0_ll15HIP_vector_typeIjLj3EEmmmmmmmmm.num_named_barrier, 0
	.set _ZL16k_get_rows_floatI14__hip_bfloat166__halfEvPKT_PKiPT0_ll15HIP_vector_typeIjLj3EEmmmmmmmmm.private_seg_size, 0
	.set _ZL16k_get_rows_floatI14__hip_bfloat166__halfEvPKT_PKiPT0_ll15HIP_vector_typeIjLj3EEmmmmmmmmm.uses_vcc, 1
	.set _ZL16k_get_rows_floatI14__hip_bfloat166__halfEvPKT_PKiPT0_ll15HIP_vector_typeIjLj3EEmmmmmmmmm.uses_flat_scratch, 0
	.set _ZL16k_get_rows_floatI14__hip_bfloat166__halfEvPKT_PKiPT0_ll15HIP_vector_typeIjLj3EEmmmmmmmmm.has_dyn_sized_stack, 0
	.set _ZL16k_get_rows_floatI14__hip_bfloat166__halfEvPKT_PKiPT0_ll15HIP_vector_typeIjLj3EEmmmmmmmmm.has_recursion, 0
	.set _ZL16k_get_rows_floatI14__hip_bfloat166__halfEvPKT_PKiPT0_ll15HIP_vector_typeIjLj3EEmmmmmmmmm.has_indirect_call, 0
	.section	.AMDGPU.csdata,"",@progbits
; Kernel info:
; codeLenInByte = 624
; TotalNumSgprs: 52
; NumVgprs: 15
; ScratchSize: 0
; MemoryBound: 0
; FloatMode: 240
; IeeeMode: 1
; LDSByteSize: 0 bytes/workgroup (compile time only)
; SGPRBlocks: 0
; VGPRBlocks: 0
; NumSGPRsForWavesPerEU: 52
; NumVGPRsForWavesPerEU: 15
; NamedBarCnt: 0
; Occupancy: 16
; WaveLimiterHint : 1
; COMPUTE_PGM_RSRC2:SCRATCH_EN: 0
; COMPUTE_PGM_RSRC2:USER_SGPR: 2
; COMPUTE_PGM_RSRC2:TRAP_HANDLER: 0
; COMPUTE_PGM_RSRC2:TGID_X_EN: 1
; COMPUTE_PGM_RSRC2:TGID_Y_EN: 1
; COMPUTE_PGM_RSRC2:TGID_Z_EN: 1
; COMPUTE_PGM_RSRC2:TIDIG_COMP_CNT: 0
	.section	.text._ZL10k_get_rowsILi128ELi1EXadL_ZL15dequantize_q1_0PKvliR15HIP_vector_typeIfLj2EEEE6__halfEvS1_PKiPT2_llS2_IjLj3EEmmmmmmmmm,"axG",@progbits,_ZL10k_get_rowsILi128ELi1EXadL_ZL15dequantize_q1_0PKvliR15HIP_vector_typeIfLj2EEEE6__halfEvS1_PKiPT2_llS2_IjLj3EEmmmmmmmmm,comdat
	.globl	_ZL10k_get_rowsILi128ELi1EXadL_ZL15dequantize_q1_0PKvliR15HIP_vector_typeIfLj2EEEE6__halfEvS1_PKiPT2_llS2_IjLj3EEmmmmmmmmm ; -- Begin function _ZL10k_get_rowsILi128ELi1EXadL_ZL15dequantize_q1_0PKvliR15HIP_vector_typeIfLj2EEEE6__halfEvS1_PKiPT2_llS2_IjLj3EEmmmmmmmmm
	.p2align	8
	.type	_ZL10k_get_rowsILi128ELi1EXadL_ZL15dequantize_q1_0PKvliR15HIP_vector_typeIfLj2EEEE6__halfEvS1_PKiPT2_llS2_IjLj3EEmmmmmmmmm,@function
_ZL10k_get_rowsILi128ELi1EXadL_ZL15dequantize_q1_0PKvliR15HIP_vector_typeIfLj2EEEE6__halfEvS1_PKiPT2_llS2_IjLj3EEmmmmmmmmm: ; @_ZL10k_get_rowsILi128ELi1EXadL_ZL15dequantize_q1_0PKvliR15HIP_vector_typeIfLj2EEEE6__halfEvS1_PKiPT2_llS2_IjLj3EEmmmmmmmmm
; %bb.0:
	s_clause 0x1
	s_load_b64 s[2:3], s[0:1], 0x2c
	s_load_b128 s[20:23], s[0:1], 0x18
	s_bfe_u32 s4, ttmp6, 0x40014
	s_lshr_b32 s6, ttmp7, 16
	s_add_co_i32 s4, s4, 1
	s_bfe_u32 s5, ttmp6, 0x40008
	s_mul_i32 s4, s6, s4
	s_mov_b32 s29, 0
	s_getreg_b32 s38, hwreg(HW_REG_IB_STS2, 6, 4)
	s_add_co_i32 s7, s5, s4
	s_cmp_eq_u32 s38, 0
	s_mov_b32 s5, s29
	s_cselect_b32 s28, s6, s7
	s_wait_kmcnt 0x0
	s_mov_b32 s4, s3
	s_delay_alu instid0(SALU_CYCLE_1) | instskip(NEXT) | instid1(SALU_CYCLE_1)
	s_mul_u64 s[22:23], s[22:23], s[4:5]
	v_cmp_le_i64_e64 s4, s[22:23], s[28:29]
	s_and_b32 vcc_lo, exec_lo, s4
	s_cbranch_vccnz .LBB24_6
; %bb.1:
	s_clause 0x5
	s_load_b64 s[30:31], s[0:1], 0x88
	s_load_b64 s[34:35], s[0:1], 0x78
	s_load_b128 s[24:27], s[0:1], 0x0
	s_load_b64 s[40:41], s[0:1], 0x10
	s_load_b32 s36, s[0:1], 0x28
	s_load_b512 s[4:19], s[0:1], 0x38
	s_bfe_u32 s39, ttmp6, 0x4000c
	s_bfe_u32 s43, ttmp6, 0x40010
	s_and_b32 s42, ttmp7, 0xffff
	s_add_co_i32 s39, s39, 1
	s_add_co_i32 s43, s43, 1
	s_and_b32 s33, ttmp6, 15
	s_bfe_u32 s44, ttmp6, 0x40004
	s_mul_i32 s39, ttmp9, s39
	s_mul_i32 s43, s42, s43
	s_add_co_i32 s39, s33, s39
	s_add_co_i32 s44, s44, s43
	s_mov_b32 s37, s29
	s_wait_kmcnt 0x0
	s_and_b32 s33, s31, 0xffff
	s_cmp_eq_u32 s38, 0
	s_cselect_b32 s31, s42, s44
	s_cselect_b32 s38, ttmp9, s39
	s_mul_i32 s31, s31, s33
	s_ashr_i32 s39, s38, 31
	v_add_lshl_u32 v0, s31, v0, 1
	v_mov_b32_e32 v1, 0
	s_mul_u64 s[42:43], s[16:17], s[38:39]
	s_add_nc_u64 s[16:17], s[0:1], 0x80
	s_lshl_b64 s[0:1], s[42:43], 2
	s_mul_u64 s[38:39], s[4:5], s[38:39]
	s_add_nc_u64 s[4:5], s[26:27], s[0:1]
	v_mov_b32_e32 v7, v0
	v_mov_b64_e32 v[2:3], v[0:1]
	v_cmp_gt_i64_e64 s0, s[20:21], v[0:1]
	v_lshlrev_b64_e32 v[4:5], 25, v[0:1]
	v_mov_b32_e32 v6, v1
	s_lshl_b64 s[38:39], s[38:39], 1
	s_mov_b64 s[26:27], 0xffffffff
	s_add_nc_u64 s[38:39], s[40:41], s[38:39]
	s_mov_b32 s31, s29
	s_mov_b64 s[40:41], s[28:29]
	s_branch .LBB24_3
.LBB24_2:                               ;   in Loop: Header=BB24_3 Depth=1
	s_or_b32 exec_lo, exec_lo, s1
	s_add_nc_u64 s[40:41], s[40:41], s[30:31]
	s_delay_alu instid0(SALU_CYCLE_1)
	v_cmp_ge_i64_e64 s1, s[40:41], s[22:23]
	s_and_b32 vcc_lo, exec_lo, s1
	s_cbranch_vccnz .LBB24_6
.LBB24_3:                               ; =>This Loop Header: Depth=1
                                        ;     Child Loop BB24_5 Depth 2
	s_and_saveexec_b32 s1, s0
	s_cbranch_execz .LBB24_2
; %bb.4:                                ;   in Loop: Header=BB24_3 Depth=1
	s_and_b64 s[42:43], s[40:41], s[26:27]
	v_mov_b64_e32 v[8:9], v[6:7]
	s_mul_u64 s[42:43], s[42:43], s[36:37]
	v_mov_b64_e32 v[10:11], v[4:5]
	s_add_co_i32 s28, s43, s40
	v_mov_b64_e32 v[12:13], v[2:3]
	s_lshr_b32 s44, s28, s2
	s_delay_alu instid0(SALU_CYCLE_1)
	s_mul_i32 s28, s44, s3
	s_ashr_i32 s45, s44, 31
	s_sub_co_i32 s46, s40, s28
	s_mul_u64 s[42:43], s[18:19], s[44:45]
	s_ashr_i32 s47, s46, 31
	s_lshl_b64 s[42:43], s[42:43], 2
	s_mul_u64 s[48:49], s[34:35], s[46:47]
	s_add_nc_u64 s[42:43], s[4:5], s[42:43]
	s_lshl_b64 s[48:49], s[48:49], 2
	s_mul_u64 s[50:51], s[6:7], s[44:45]
	s_add_nc_u64 s[42:43], s[42:43], s[48:49]
	s_lshl_b64 s[50:51], s[50:51], 1
	s_load_b32 s48, s[42:43], 0x0
	s_load_b32 s28, s[16:17], 0x4
	s_mul_u64 s[52:53], s[12:13], s[44:45]
	s_add_nc_u64 s[44:45], s[38:39], s[50:51]
	s_mul_u64 s[50:51], s[8:9], s[46:47]
	s_mul_u64 s[54:55], s[14:15], s[46:47]
	s_lshl_b64 s[46:47], s[50:51], 1
	s_wait_xcnt 0x0
	s_mov_b32 s42, 0
	s_add_nc_u64 s[44:45], s[44:45], s[46:47]
	s_mov_b32 s50, s42
	s_wait_kmcnt 0x0
	s_ashr_i32 s49, s48, 31
	s_mul_i32 s28, s28, s33
	s_mul_u64 s[46:47], s[10:11], s[48:49]
	s_mov_b32 s43, s28
	s_add_nc_u64 s[48:49], s[24:25], s[46:47]
	s_lshl_b64 s[46:47], s[28:29], 25
	s_add_nc_u64 s[48:49], s[48:49], s[52:53]
	s_delay_alu instid0(SALU_CYCLE_1)
	s_add_nc_u64 s[48:49], s[48:49], s[54:55]
.LBB24_5:                               ;   Parent Loop BB24_3 Depth=1
                                        ; =>  This Inner Loop Header: Depth=2
	v_and_b32_e32 v0, 0x7f, v12
	v_mad_nc_i64_i32 v[14:15], v11, 18, s[48:49]
	v_add_nc_u64_e32 v[10:11], s[46:47], v[10:11]
	s_delay_alu instid0(VALU_DEP_3) | instskip(SKIP_1) | instid1(VALU_DEP_2)
	v_dual_mov_b32 v17, v1 :: v_dual_add_nc_u32 v20, 1, v0
	v_bfe_u32 v0, v12, 3, 4
	v_lshrrev_b32_e32 v16, 3, v20
	s_delay_alu instid0(VALU_DEP_2) | instskip(NEXT) | instid1(VALU_DEP_2)
	v_add_nc_u64_e32 v[18:19], v[14:15], v[0:1]
	v_add_nc_u64_e32 v[16:17], v[14:15], v[16:17]
	s_clause 0x2
	global_load_u16 v0, v[14:15], off
	global_load_u8 v21, v[18:19], off offset:2
	global_load_u8 v22, v[16:17], off offset:2
	s_wait_xcnt 0x2
	v_and_b32_e32 v15, 7, v20
	v_and_b32_e32 v14, 7, v12
	v_add_nc_u64_e32 v[12:13], s[28:29], v[12:13]
	s_delay_alu instid0(VALU_DEP_1)
	v_cmp_le_i64_e32 vcc_lo, s[20:21], v[12:13]
	s_or_b32 s50, vcc_lo, s50
	s_wait_loadcnt 0x2
	v_cvt_f32_f16_e32 v0, v0
	s_wait_loadcnt 0x0
	v_dual_lshrrev_b32 v15, v15, v22 :: v_dual_lshrrev_b32 v14, v14, v21
	s_delay_alu instid0(VALU_DEP_1) | instskip(NEXT) | instid1(VALU_DEP_1)
	v_dual_lshlrev_b32 v15, 1, v15 :: v_dual_lshlrev_b32 v14, 1, v14
	v_and_b32_e32 v15, 2, v15
	s_delay_alu instid0(VALU_DEP_1) | instskip(NEXT) | instid1(VALU_DEP_1)
	v_dual_add_nc_u32 v15, -1, v15 :: v_dual_bitop2_b32 v14, 2, v14 bitop3:0x40
	v_add_nc_u32_e32 v14, -1, v14
	s_wait_xcnt 0x0
	s_delay_alu instid0(VALU_DEP_2) | instskip(NEXT) | instid1(VALU_DEP_2)
	v_cvt_f32_i32_e32 v17, v15
	v_cvt_f32_i32_e32 v16, v14
	v_ashrrev_i64 v[14:15], 31, v[8:9]
	v_add_nc_u64_e32 v[8:9], s[42:43], v[8:9]
	s_delay_alu instid0(VALU_DEP_3) | instskip(NEXT) | instid1(VALU_DEP_3)
	v_dual_mul_f32 v16, v0, v16 :: v_dual_mul_f32 v0, v0, v17
	v_add_nc_u64_e32 v[14:15], s[44:45], v[14:15]
	s_delay_alu instid0(VALU_DEP_2)
	v_cvt_pk_f16_f32 v0, v16, v0
	global_store_b32 v[14:15], v0, off
	s_wait_xcnt 0x0
	s_and_not1_b32 exec_lo, exec_lo, s50
	s_cbranch_execnz .LBB24_5
	s_branch .LBB24_2
.LBB24_6:
	s_endpgm
	.section	.rodata,"a",@progbits
	.p2align	6, 0x0
	.amdhsa_kernel _ZL10k_get_rowsILi128ELi1EXadL_ZL15dequantize_q1_0PKvliR15HIP_vector_typeIfLj2EEEE6__halfEvS1_PKiPT2_llS2_IjLj3EEmmmmmmmmm
		.amdhsa_group_segment_fixed_size 0
		.amdhsa_private_segment_fixed_size 0
		.amdhsa_kernarg_size 384
		.amdhsa_user_sgpr_count 2
		.amdhsa_user_sgpr_dispatch_ptr 0
		.amdhsa_user_sgpr_queue_ptr 0
		.amdhsa_user_sgpr_kernarg_segment_ptr 1
		.amdhsa_user_sgpr_dispatch_id 0
		.amdhsa_user_sgpr_kernarg_preload_length 0
		.amdhsa_user_sgpr_kernarg_preload_offset 0
		.amdhsa_user_sgpr_private_segment_size 0
		.amdhsa_wavefront_size32 1
		.amdhsa_uses_dynamic_stack 0
		.amdhsa_enable_private_segment 0
		.amdhsa_system_sgpr_workgroup_id_x 1
		.amdhsa_system_sgpr_workgroup_id_y 1
		.amdhsa_system_sgpr_workgroup_id_z 1
		.amdhsa_system_sgpr_workgroup_info 0
		.amdhsa_system_vgpr_workitem_id 0
		.amdhsa_next_free_vgpr 23
		.amdhsa_next_free_sgpr 56
		.amdhsa_named_barrier_count 0
		.amdhsa_reserve_vcc 1
		.amdhsa_float_round_mode_32 0
		.amdhsa_float_round_mode_16_64 0
		.amdhsa_float_denorm_mode_32 3
		.amdhsa_float_denorm_mode_16_64 3
		.amdhsa_fp16_overflow 0
		.amdhsa_memory_ordered 1
		.amdhsa_forward_progress 1
		.amdhsa_inst_pref_size 7
		.amdhsa_round_robin_scheduling 0
		.amdhsa_exception_fp_ieee_invalid_op 0
		.amdhsa_exception_fp_denorm_src 0
		.amdhsa_exception_fp_ieee_div_zero 0
		.amdhsa_exception_fp_ieee_overflow 0
		.amdhsa_exception_fp_ieee_underflow 0
		.amdhsa_exception_fp_ieee_inexact 0
		.amdhsa_exception_int_div_zero 0
	.end_amdhsa_kernel
	.section	.text._ZL10k_get_rowsILi128ELi1EXadL_ZL15dequantize_q1_0PKvliR15HIP_vector_typeIfLj2EEEE6__halfEvS1_PKiPT2_llS2_IjLj3EEmmmmmmmmm,"axG",@progbits,_ZL10k_get_rowsILi128ELi1EXadL_ZL15dequantize_q1_0PKvliR15HIP_vector_typeIfLj2EEEE6__halfEvS1_PKiPT2_llS2_IjLj3EEmmmmmmmmm,comdat
.Lfunc_end24:
	.size	_ZL10k_get_rowsILi128ELi1EXadL_ZL15dequantize_q1_0PKvliR15HIP_vector_typeIfLj2EEEE6__halfEvS1_PKiPT2_llS2_IjLj3EEmmmmmmmmm, .Lfunc_end24-_ZL10k_get_rowsILi128ELi1EXadL_ZL15dequantize_q1_0PKvliR15HIP_vector_typeIfLj2EEEE6__halfEvS1_PKiPT2_llS2_IjLj3EEmmmmmmmmm
                                        ; -- End function
	.set _ZL10k_get_rowsILi128ELi1EXadL_ZL15dequantize_q1_0PKvliR15HIP_vector_typeIfLj2EEEE6__halfEvS1_PKiPT2_llS2_IjLj3EEmmmmmmmmm.num_vgpr, 23
	.set _ZL10k_get_rowsILi128ELi1EXadL_ZL15dequantize_q1_0PKvliR15HIP_vector_typeIfLj2EEEE6__halfEvS1_PKiPT2_llS2_IjLj3EEmmmmmmmmm.num_agpr, 0
	.set _ZL10k_get_rowsILi128ELi1EXadL_ZL15dequantize_q1_0PKvliR15HIP_vector_typeIfLj2EEEE6__halfEvS1_PKiPT2_llS2_IjLj3EEmmmmmmmmm.numbered_sgpr, 56
	.set _ZL10k_get_rowsILi128ELi1EXadL_ZL15dequantize_q1_0PKvliR15HIP_vector_typeIfLj2EEEE6__halfEvS1_PKiPT2_llS2_IjLj3EEmmmmmmmmm.num_named_barrier, 0
	.set _ZL10k_get_rowsILi128ELi1EXadL_ZL15dequantize_q1_0PKvliR15HIP_vector_typeIfLj2EEEE6__halfEvS1_PKiPT2_llS2_IjLj3EEmmmmmmmmm.private_seg_size, 0
	.set _ZL10k_get_rowsILi128ELi1EXadL_ZL15dequantize_q1_0PKvliR15HIP_vector_typeIfLj2EEEE6__halfEvS1_PKiPT2_llS2_IjLj3EEmmmmmmmmm.uses_vcc, 1
	.set _ZL10k_get_rowsILi128ELi1EXadL_ZL15dequantize_q1_0PKvliR15HIP_vector_typeIfLj2EEEE6__halfEvS1_PKiPT2_llS2_IjLj3EEmmmmmmmmm.uses_flat_scratch, 0
	.set _ZL10k_get_rowsILi128ELi1EXadL_ZL15dequantize_q1_0PKvliR15HIP_vector_typeIfLj2EEEE6__halfEvS1_PKiPT2_llS2_IjLj3EEmmmmmmmmm.has_dyn_sized_stack, 0
	.set _ZL10k_get_rowsILi128ELi1EXadL_ZL15dequantize_q1_0PKvliR15HIP_vector_typeIfLj2EEEE6__halfEvS1_PKiPT2_llS2_IjLj3EEmmmmmmmmm.has_recursion, 0
	.set _ZL10k_get_rowsILi128ELi1EXadL_ZL15dequantize_q1_0PKvliR15HIP_vector_typeIfLj2EEEE6__halfEvS1_PKiPT2_llS2_IjLj3EEmmmmmmmmm.has_indirect_call, 0
	.section	.AMDGPU.csdata,"",@progbits
; Kernel info:
; codeLenInByte = 828
; TotalNumSgprs: 58
; NumVgprs: 23
; ScratchSize: 0
; MemoryBound: 0
; FloatMode: 240
; IeeeMode: 1
; LDSByteSize: 0 bytes/workgroup (compile time only)
; SGPRBlocks: 0
; VGPRBlocks: 1
; NumSGPRsForWavesPerEU: 58
; NumVGPRsForWavesPerEU: 23
; NamedBarCnt: 0
; Occupancy: 16
; WaveLimiterHint : 1
; COMPUTE_PGM_RSRC2:SCRATCH_EN: 0
; COMPUTE_PGM_RSRC2:USER_SGPR: 2
; COMPUTE_PGM_RSRC2:TRAP_HANDLER: 0
; COMPUTE_PGM_RSRC2:TGID_X_EN: 1
; COMPUTE_PGM_RSRC2:TGID_Y_EN: 1
; COMPUTE_PGM_RSRC2:TGID_Z_EN: 1
; COMPUTE_PGM_RSRC2:TIDIG_COMP_CNT: 0
	.section	.text._ZL10k_get_rowsILi32ELi2EXadL_ZL15dequantize_q4_0PKvliR15HIP_vector_typeIfLj2EEEE6__halfEvS1_PKiPT2_llS2_IjLj3EEmmmmmmmmm,"axG",@progbits,_ZL10k_get_rowsILi32ELi2EXadL_ZL15dequantize_q4_0PKvliR15HIP_vector_typeIfLj2EEEE6__halfEvS1_PKiPT2_llS2_IjLj3EEmmmmmmmmm,comdat
	.globl	_ZL10k_get_rowsILi32ELi2EXadL_ZL15dequantize_q4_0PKvliR15HIP_vector_typeIfLj2EEEE6__halfEvS1_PKiPT2_llS2_IjLj3EEmmmmmmmmm ; -- Begin function _ZL10k_get_rowsILi32ELi2EXadL_ZL15dequantize_q4_0PKvliR15HIP_vector_typeIfLj2EEEE6__halfEvS1_PKiPT2_llS2_IjLj3EEmmmmmmmmm
	.p2align	8
	.type	_ZL10k_get_rowsILi32ELi2EXadL_ZL15dequantize_q4_0PKvliR15HIP_vector_typeIfLj2EEEE6__halfEvS1_PKiPT2_llS2_IjLj3EEmmmmmmmmm,@function
_ZL10k_get_rowsILi32ELi2EXadL_ZL15dequantize_q4_0PKvliR15HIP_vector_typeIfLj2EEEE6__halfEvS1_PKiPT2_llS2_IjLj3EEmmmmmmmmm: ; @_ZL10k_get_rowsILi32ELi2EXadL_ZL15dequantize_q4_0PKvliR15HIP_vector_typeIfLj2EEEE6__halfEvS1_PKiPT2_llS2_IjLj3EEmmmmmmmmm
; %bb.0:
	s_clause 0x1
	s_load_b64 s[2:3], s[0:1], 0x2c
	s_load_b128 s[20:23], s[0:1], 0x18
	s_bfe_u32 s4, ttmp6, 0x40014
	s_lshr_b32 s6, ttmp7, 16
	s_add_co_i32 s4, s4, 1
	s_bfe_u32 s5, ttmp6, 0x40008
	s_mul_i32 s4, s6, s4
	s_mov_b32 s29, 0
	s_getreg_b32 s38, hwreg(HW_REG_IB_STS2, 6, 4)
	s_add_co_i32 s7, s5, s4
	s_cmp_eq_u32 s38, 0
	s_mov_b32 s5, s29
	s_cselect_b32 s28, s6, s7
	s_wait_kmcnt 0x0
	s_mov_b32 s4, s3
	s_delay_alu instid0(SALU_CYCLE_1) | instskip(NEXT) | instid1(SALU_CYCLE_1)
	s_mul_u64 s[22:23], s[22:23], s[4:5]
	v_cmp_le_i64_e64 s4, s[22:23], s[28:29]
	s_and_b32 vcc_lo, exec_lo, s4
	s_cbranch_vccnz .LBB25_6
; %bb.1:
	s_clause 0x5
	s_load_b64 s[30:31], s[0:1], 0x88
	s_load_b64 s[34:35], s[0:1], 0x78
	s_load_b128 s[24:27], s[0:1], 0x0
	s_load_b64 s[40:41], s[0:1], 0x10
	s_load_b32 s36, s[0:1], 0x28
	s_load_b512 s[4:19], s[0:1], 0x38
	s_bfe_u32 s39, ttmp6, 0x4000c
	s_bfe_u32 s43, ttmp6, 0x40010
	s_and_b32 s42, ttmp7, 0xffff
	s_add_co_i32 s39, s39, 1
	s_add_co_i32 s43, s43, 1
	s_and_b32 s33, ttmp6, 15
	s_bfe_u32 s44, ttmp6, 0x40004
	s_mul_i32 s39, ttmp9, s39
	s_mul_i32 s43, s42, s43
	s_add_co_i32 s39, s33, s39
	s_add_co_i32 s44, s44, s43
	v_mov_b32_e32 v1, 0
	s_mov_b32 s37, s29
	s_wait_kmcnt 0x0
	s_and_b32 s33, s31, 0xffff
	s_cmp_eq_u32 s38, 0
	s_cselect_b32 s31, s42, s44
	s_cselect_b32 s42, ttmp9, s39
	s_mul_i32 s31, s31, s33
	s_ashr_i32 s43, s42, 31
	v_add_lshl_u32 v0, s31, v0, 1
	s_add_nc_u64 s[38:39], s[0:1], 0x80
	s_mul_u64 s[0:1], s[16:17], s[42:43]
	s_mul_u64 s[16:17], s[4:5], s[42:43]
	s_lshl_b64 s[42:43], s[0:1], 2
	v_mov_b64_e32 v[2:3], v[0:1]
	v_cmp_gt_i64_e64 s0, s[20:21], v[0:1]
	v_lshlrev_b64_e32 v[4:5], 27, v[0:1]
	s_lshl_b64 s[44:45], s[16:17], 1
	s_mov_b64 s[4:5], 0xffffffff
	s_add_nc_u64 s[16:17], s[26:27], s[42:43]
	s_add_nc_u64 s[26:27], s[40:41], s[44:45]
	s_mov_b32 s31, s29
	s_mov_b64 s[40:41], s[28:29]
	s_branch .LBB25_3
.LBB25_2:                               ;   in Loop: Header=BB25_3 Depth=1
	s_or_b32 exec_lo, exec_lo, s1
	s_add_nc_u64 s[40:41], s[40:41], s[30:31]
	s_delay_alu instid0(SALU_CYCLE_1)
	v_cmp_ge_i64_e64 s1, s[40:41], s[22:23]
	s_and_b32 vcc_lo, exec_lo, s1
	s_cbranch_vccnz .LBB25_6
.LBB25_3:                               ; =>This Loop Header: Depth=1
                                        ;     Child Loop BB25_5 Depth 2
	s_and_saveexec_b32 s1, s0
	s_cbranch_execz .LBB25_2
; %bb.4:                                ;   in Loop: Header=BB25_3 Depth=1
	s_and_b64 s[42:43], s[40:41], s[4:5]
	v_mov_b64_e32 v[6:7], v[4:5]
	s_mul_u64 s[42:43], s[42:43], s[36:37]
	v_mov_b64_e32 v[8:9], v[2:3]
	s_add_co_i32 s28, s43, s40
	s_delay_alu instid0(SALU_CYCLE_1) | instskip(NEXT) | instid1(SALU_CYCLE_1)
	s_lshr_b32 s42, s28, s2
	s_mul_i32 s28, s42, s3
	s_ashr_i32 s43, s42, 31
	s_sub_co_i32 s44, s40, s28
	s_mul_u64 s[46:47], s[18:19], s[42:43]
	s_ashr_i32 s45, s44, 31
	s_lshl_b64 s[46:47], s[46:47], 2
	s_mul_u64 s[48:49], s[34:35], s[44:45]
	s_add_nc_u64 s[46:47], s[16:17], s[46:47]
	s_lshl_b64 s[48:49], s[48:49], 2
	s_mul_u64 s[50:51], s[12:13], s[42:43]
	s_add_nc_u64 s[46:47], s[46:47], s[48:49]
	s_mul_u64 s[52:53], s[14:15], s[44:45]
	s_load_b32 s48, s[46:47], 0x0
	s_load_b32 s28, s[38:39], 0x4
	s_wait_xcnt 0x0
	s_mul_u64 s[46:47], s[6:7], s[42:43]
	s_delay_alu instid0(SALU_CYCLE_1) | instskip(NEXT) | instid1(SALU_CYCLE_1)
	s_lshl_b64 s[46:47], s[46:47], 1
	s_add_nc_u64 s[42:43], s[26:27], s[46:47]
	s_mul_u64 s[46:47], s[8:9], s[44:45]
	s_delay_alu instid0(SALU_CYCLE_1) | instskip(NEXT) | instid1(SALU_CYCLE_1)
	s_lshl_b64 s[44:45], s[46:47], 1
	s_add_nc_u64 s[42:43], s[42:43], s[44:45]
	s_wait_kmcnt 0x0
	s_ashr_i32 s49, s48, 31
	s_mul_i32 s28, s28, s33
	s_mul_u64 s[46:47], s[10:11], s[48:49]
	s_mov_b32 s48, 0
	s_add_nc_u64 s[44:45], s[24:25], s[46:47]
	s_delay_alu instid0(SALU_CYCLE_1)
	s_add_nc_u64 s[46:47], s[44:45], s[50:51]
	s_lshl_b64 s[44:45], s[28:29], 27
	s_add_nc_u64 s[46:47], s[46:47], s[52:53]
.LBB25_5:                               ;   Parent Loop BB25_3 Depth=1
                                        ; =>  This Inner Loop Header: Depth=2
	s_delay_alu instid0(SALU_CYCLE_1) | instskip(SKIP_2) | instid1(VALU_DEP_2)
	v_mad_nc_i64_i32 v[10:11], v7, 18, s[46:47]
	v_bfe_u32 v0, v8, 1, 4
	v_add_nc_u64_e32 v[6:7], s[44:45], v[6:7]
	v_add_nc_u64_e32 v[12:13], v[10:11], v[0:1]
	v_and_or_b32 v0, 0xffffffe0, v8, v0
	v_add_nc_u64_e32 v[8:9], s[28:29], v[8:9]
	s_clause 0x1
	global_load_u16 v14, v[10:11], off
	global_load_u8 v15, v[12:13], off offset:2
	v_cmp_le_i64_e32 vcc_lo, s[20:21], v[8:9]
	s_or_b32 s48, vcc_lo, s48
	s_wait_loadcnt 0x0
	s_wait_xcnt 0x1
	v_dual_lshrrev_b32 v11, 4, v15 :: v_dual_bitop2_b32 v10, 15, v15 bitop3:0x40
	s_delay_alu instid0(VALU_DEP_1) | instskip(NEXT) | instid1(VALU_DEP_1)
	v_dual_add_nc_u32 v10, -8, v10 :: v_dual_add_nc_u32 v11, -8, v11
	v_cvt_f32_i32_e32 v10, v10
	s_delay_alu instid0(VALU_DEP_2) | instskip(NEXT) | instid1(VALU_DEP_2)
	v_cvt_f32_i32_e32 v11, v11
	v_fma_mixlo_f16 v10, v14, v10, 0 op_sel_hi:[1,0,0]
	s_delay_alu instid0(VALU_DEP_2)
	v_fma_mixlo_f16 v11, v14, v11, 0 op_sel_hi:[1,0,0]
	s_clause 0x1
	global_store_b16 v0, v10, s[42:43] scale_offset
	global_store_b16 v0, v11, s[42:43] offset:32 scale_offset
	s_wait_xcnt 0x0
	s_and_not1_b32 exec_lo, exec_lo, s48
	s_cbranch_execnz .LBB25_5
	s_branch .LBB25_2
.LBB25_6:
	s_endpgm
	.section	.rodata,"a",@progbits
	.p2align	6, 0x0
	.amdhsa_kernel _ZL10k_get_rowsILi32ELi2EXadL_ZL15dequantize_q4_0PKvliR15HIP_vector_typeIfLj2EEEE6__halfEvS1_PKiPT2_llS2_IjLj3EEmmmmmmmmm
		.amdhsa_group_segment_fixed_size 0
		.amdhsa_private_segment_fixed_size 0
		.amdhsa_kernarg_size 384
		.amdhsa_user_sgpr_count 2
		.amdhsa_user_sgpr_dispatch_ptr 0
		.amdhsa_user_sgpr_queue_ptr 0
		.amdhsa_user_sgpr_kernarg_segment_ptr 1
		.amdhsa_user_sgpr_dispatch_id 0
		.amdhsa_user_sgpr_kernarg_preload_length 0
		.amdhsa_user_sgpr_kernarg_preload_offset 0
		.amdhsa_user_sgpr_private_segment_size 0
		.amdhsa_wavefront_size32 1
		.amdhsa_uses_dynamic_stack 0
		.amdhsa_enable_private_segment 0
		.amdhsa_system_sgpr_workgroup_id_x 1
		.amdhsa_system_sgpr_workgroup_id_y 1
		.amdhsa_system_sgpr_workgroup_id_z 1
		.amdhsa_system_sgpr_workgroup_info 0
		.amdhsa_system_vgpr_workitem_id 0
		.amdhsa_next_free_vgpr 16
		.amdhsa_next_free_sgpr 54
		.amdhsa_named_barrier_count 0
		.amdhsa_reserve_vcc 1
		.amdhsa_float_round_mode_32 0
		.amdhsa_float_round_mode_16_64 0
		.amdhsa_float_denorm_mode_32 3
		.amdhsa_float_denorm_mode_16_64 3
		.amdhsa_fp16_overflow 0
		.amdhsa_memory_ordered 1
		.amdhsa_forward_progress 1
		.amdhsa_inst_pref_size 6
		.amdhsa_round_robin_scheduling 0
		.amdhsa_exception_fp_ieee_invalid_op 0
		.amdhsa_exception_fp_denorm_src 0
		.amdhsa_exception_fp_ieee_div_zero 0
		.amdhsa_exception_fp_ieee_overflow 0
		.amdhsa_exception_fp_ieee_underflow 0
		.amdhsa_exception_fp_ieee_inexact 0
		.amdhsa_exception_int_div_zero 0
	.end_amdhsa_kernel
	.section	.text._ZL10k_get_rowsILi32ELi2EXadL_ZL15dequantize_q4_0PKvliR15HIP_vector_typeIfLj2EEEE6__halfEvS1_PKiPT2_llS2_IjLj3EEmmmmmmmmm,"axG",@progbits,_ZL10k_get_rowsILi32ELi2EXadL_ZL15dequantize_q4_0PKvliR15HIP_vector_typeIfLj2EEEE6__halfEvS1_PKiPT2_llS2_IjLj3EEmmmmmmmmm,comdat
.Lfunc_end25:
	.size	_ZL10k_get_rowsILi32ELi2EXadL_ZL15dequantize_q4_0PKvliR15HIP_vector_typeIfLj2EEEE6__halfEvS1_PKiPT2_llS2_IjLj3EEmmmmmmmmm, .Lfunc_end25-_ZL10k_get_rowsILi32ELi2EXadL_ZL15dequantize_q4_0PKvliR15HIP_vector_typeIfLj2EEEE6__halfEvS1_PKiPT2_llS2_IjLj3EEmmmmmmmmm
                                        ; -- End function
	.set _ZL10k_get_rowsILi32ELi2EXadL_ZL15dequantize_q4_0PKvliR15HIP_vector_typeIfLj2EEEE6__halfEvS1_PKiPT2_llS2_IjLj3EEmmmmmmmmm.num_vgpr, 16
	.set _ZL10k_get_rowsILi32ELi2EXadL_ZL15dequantize_q4_0PKvliR15HIP_vector_typeIfLj2EEEE6__halfEvS1_PKiPT2_llS2_IjLj3EEmmmmmmmmm.num_agpr, 0
	.set _ZL10k_get_rowsILi32ELi2EXadL_ZL15dequantize_q4_0PKvliR15HIP_vector_typeIfLj2EEEE6__halfEvS1_PKiPT2_llS2_IjLj3EEmmmmmmmmm.numbered_sgpr, 54
	.set _ZL10k_get_rowsILi32ELi2EXadL_ZL15dequantize_q4_0PKvliR15HIP_vector_typeIfLj2EEEE6__halfEvS1_PKiPT2_llS2_IjLj3EEmmmmmmmmm.num_named_barrier, 0
	.set _ZL10k_get_rowsILi32ELi2EXadL_ZL15dequantize_q4_0PKvliR15HIP_vector_typeIfLj2EEEE6__halfEvS1_PKiPT2_llS2_IjLj3EEmmmmmmmmm.private_seg_size, 0
	.set _ZL10k_get_rowsILi32ELi2EXadL_ZL15dequantize_q4_0PKvliR15HIP_vector_typeIfLj2EEEE6__halfEvS1_PKiPT2_llS2_IjLj3EEmmmmmmmmm.uses_vcc, 1
	.set _ZL10k_get_rowsILi32ELi2EXadL_ZL15dequantize_q4_0PKvliR15HIP_vector_typeIfLj2EEEE6__halfEvS1_PKiPT2_llS2_IjLj3EEmmmmmmmmm.uses_flat_scratch, 0
	.set _ZL10k_get_rowsILi32ELi2EXadL_ZL15dequantize_q4_0PKvliR15HIP_vector_typeIfLj2EEEE6__halfEvS1_PKiPT2_llS2_IjLj3EEmmmmmmmmm.has_dyn_sized_stack, 0
	.set _ZL10k_get_rowsILi32ELi2EXadL_ZL15dequantize_q4_0PKvliR15HIP_vector_typeIfLj2EEEE6__halfEvS1_PKiPT2_llS2_IjLj3EEmmmmmmmmm.has_recursion, 0
	.set _ZL10k_get_rowsILi32ELi2EXadL_ZL15dequantize_q4_0PKvliR15HIP_vector_typeIfLj2EEEE6__halfEvS1_PKiPT2_llS2_IjLj3EEmmmmmmmmm.has_indirect_call, 0
	.section	.AMDGPU.csdata,"",@progbits
; Kernel info:
; codeLenInByte = 732
; TotalNumSgprs: 56
; NumVgprs: 16
; ScratchSize: 0
; MemoryBound: 0
; FloatMode: 240
; IeeeMode: 1
; LDSByteSize: 0 bytes/workgroup (compile time only)
; SGPRBlocks: 0
; VGPRBlocks: 0
; NumSGPRsForWavesPerEU: 56
; NumVGPRsForWavesPerEU: 16
; NamedBarCnt: 0
; Occupancy: 16
; WaveLimiterHint : 1
; COMPUTE_PGM_RSRC2:SCRATCH_EN: 0
; COMPUTE_PGM_RSRC2:USER_SGPR: 2
; COMPUTE_PGM_RSRC2:TRAP_HANDLER: 0
; COMPUTE_PGM_RSRC2:TGID_X_EN: 1
; COMPUTE_PGM_RSRC2:TGID_Y_EN: 1
; COMPUTE_PGM_RSRC2:TGID_Z_EN: 1
; COMPUTE_PGM_RSRC2:TIDIG_COMP_CNT: 0
	.section	.text._ZL10k_get_rowsILi32ELi2EXadL_ZL15dequantize_q4_1PKvliR15HIP_vector_typeIfLj2EEEE6__halfEvS1_PKiPT2_llS2_IjLj3EEmmmmmmmmm,"axG",@progbits,_ZL10k_get_rowsILi32ELi2EXadL_ZL15dequantize_q4_1PKvliR15HIP_vector_typeIfLj2EEEE6__halfEvS1_PKiPT2_llS2_IjLj3EEmmmmmmmmm,comdat
	.globl	_ZL10k_get_rowsILi32ELi2EXadL_ZL15dequantize_q4_1PKvliR15HIP_vector_typeIfLj2EEEE6__halfEvS1_PKiPT2_llS2_IjLj3EEmmmmmmmmm ; -- Begin function _ZL10k_get_rowsILi32ELi2EXadL_ZL15dequantize_q4_1PKvliR15HIP_vector_typeIfLj2EEEE6__halfEvS1_PKiPT2_llS2_IjLj3EEmmmmmmmmm
	.p2align	8
	.type	_ZL10k_get_rowsILi32ELi2EXadL_ZL15dequantize_q4_1PKvliR15HIP_vector_typeIfLj2EEEE6__halfEvS1_PKiPT2_llS2_IjLj3EEmmmmmmmmm,@function
_ZL10k_get_rowsILi32ELi2EXadL_ZL15dequantize_q4_1PKvliR15HIP_vector_typeIfLj2EEEE6__halfEvS1_PKiPT2_llS2_IjLj3EEmmmmmmmmm: ; @_ZL10k_get_rowsILi32ELi2EXadL_ZL15dequantize_q4_1PKvliR15HIP_vector_typeIfLj2EEEE6__halfEvS1_PKiPT2_llS2_IjLj3EEmmmmmmmmm
; %bb.0:
	s_clause 0x1
	s_load_b64 s[2:3], s[0:1], 0x2c
	s_load_b128 s[20:23], s[0:1], 0x18
	s_bfe_u32 s4, ttmp6, 0x40014
	s_lshr_b32 s6, ttmp7, 16
	s_add_co_i32 s4, s4, 1
	s_bfe_u32 s5, ttmp6, 0x40008
	s_mul_i32 s4, s6, s4
	s_mov_b32 s29, 0
	s_getreg_b32 s38, hwreg(HW_REG_IB_STS2, 6, 4)
	s_add_co_i32 s7, s5, s4
	s_cmp_eq_u32 s38, 0
	s_mov_b32 s5, s29
	s_cselect_b32 s28, s6, s7
	s_wait_kmcnt 0x0
	s_mov_b32 s4, s3
	s_delay_alu instid0(SALU_CYCLE_1) | instskip(NEXT) | instid1(SALU_CYCLE_1)
	s_mul_u64 s[22:23], s[22:23], s[4:5]
	v_cmp_le_i64_e64 s4, s[22:23], s[28:29]
	s_and_b32 vcc_lo, exec_lo, s4
	s_cbranch_vccnz .LBB26_6
; %bb.1:
	s_clause 0x5
	s_load_b64 s[30:31], s[0:1], 0x88
	s_load_b64 s[34:35], s[0:1], 0x78
	s_load_b128 s[24:27], s[0:1], 0x0
	s_load_b64 s[40:41], s[0:1], 0x10
	s_load_b32 s36, s[0:1], 0x28
	s_load_b512 s[4:19], s[0:1], 0x38
	s_bfe_u32 s39, ttmp6, 0x4000c
	s_bfe_u32 s43, ttmp6, 0x40010
	s_and_b32 s42, ttmp7, 0xffff
	s_add_co_i32 s39, s39, 1
	s_add_co_i32 s43, s43, 1
	s_and_b32 s33, ttmp6, 15
	s_bfe_u32 s44, ttmp6, 0x40004
	s_mul_i32 s39, ttmp9, s39
	s_mul_i32 s43, s42, s43
	s_add_co_i32 s39, s33, s39
	s_add_co_i32 s44, s44, s43
	v_mov_b32_e32 v1, 0
	s_mov_b32 s37, s29
	s_wait_kmcnt 0x0
	s_and_b32 s33, s31, 0xffff
	s_cmp_eq_u32 s38, 0
	s_cselect_b32 s31, s42, s44
	s_cselect_b32 s42, ttmp9, s39
	s_mul_i32 s31, s31, s33
	s_ashr_i32 s43, s42, 31
	v_add_lshl_u32 v0, s31, v0, 1
	s_add_nc_u64 s[38:39], s[0:1], 0x80
	s_mul_u64 s[0:1], s[16:17], s[42:43]
	s_mul_u64 s[16:17], s[4:5], s[42:43]
	s_lshl_b64 s[42:43], s[0:1], 2
	v_mov_b64_e32 v[2:3], v[0:1]
	v_cmp_gt_i64_e64 s0, s[20:21], v[0:1]
	v_lshlrev_b64_e32 v[4:5], 27, v[0:1]
	s_lshl_b64 s[44:45], s[16:17], 1
	s_mov_b64 s[4:5], 0xffffffff
	s_add_nc_u64 s[16:17], s[26:27], s[42:43]
	s_add_nc_u64 s[26:27], s[40:41], s[44:45]
	s_mov_b32 s31, s29
	s_mov_b64 s[40:41], s[28:29]
	s_branch .LBB26_3
.LBB26_2:                               ;   in Loop: Header=BB26_3 Depth=1
	s_or_b32 exec_lo, exec_lo, s1
	s_add_nc_u64 s[40:41], s[40:41], s[30:31]
	s_delay_alu instid0(SALU_CYCLE_1)
	v_cmp_ge_i64_e64 s1, s[40:41], s[22:23]
	s_and_b32 vcc_lo, exec_lo, s1
	s_cbranch_vccnz .LBB26_6
.LBB26_3:                               ; =>This Loop Header: Depth=1
                                        ;     Child Loop BB26_5 Depth 2
	s_and_saveexec_b32 s1, s0
	s_cbranch_execz .LBB26_2
; %bb.4:                                ;   in Loop: Header=BB26_3 Depth=1
	s_and_b64 s[42:43], s[40:41], s[4:5]
	v_mov_b64_e32 v[6:7], v[4:5]
	s_mul_u64 s[42:43], s[42:43], s[36:37]
	v_mov_b64_e32 v[8:9], v[2:3]
	s_add_co_i32 s28, s43, s40
	s_delay_alu instid0(SALU_CYCLE_1) | instskip(NEXT) | instid1(SALU_CYCLE_1)
	s_lshr_b32 s42, s28, s2
	s_mul_i32 s28, s42, s3
	s_ashr_i32 s43, s42, 31
	s_sub_co_i32 s44, s40, s28
	s_mul_u64 s[46:47], s[18:19], s[42:43]
	s_ashr_i32 s45, s44, 31
	s_lshl_b64 s[46:47], s[46:47], 2
	s_mul_u64 s[48:49], s[34:35], s[44:45]
	s_add_nc_u64 s[46:47], s[16:17], s[46:47]
	s_lshl_b64 s[48:49], s[48:49], 2
	s_mul_u64 s[50:51], s[12:13], s[42:43]
	s_add_nc_u64 s[46:47], s[46:47], s[48:49]
	s_mul_u64 s[52:53], s[14:15], s[44:45]
	s_load_b32 s48, s[46:47], 0x0
	s_load_b32 s28, s[38:39], 0x4
	s_wait_xcnt 0x0
	s_mul_u64 s[46:47], s[6:7], s[42:43]
	s_delay_alu instid0(SALU_CYCLE_1) | instskip(NEXT) | instid1(SALU_CYCLE_1)
	s_lshl_b64 s[46:47], s[46:47], 1
	s_add_nc_u64 s[42:43], s[26:27], s[46:47]
	s_mul_u64 s[46:47], s[8:9], s[44:45]
	s_delay_alu instid0(SALU_CYCLE_1) | instskip(NEXT) | instid1(SALU_CYCLE_1)
	s_lshl_b64 s[44:45], s[46:47], 1
	s_add_nc_u64 s[42:43], s[42:43], s[44:45]
	s_wait_kmcnt 0x0
	s_ashr_i32 s49, s48, 31
	s_mul_i32 s28, s28, s33
	s_mul_u64 s[46:47], s[10:11], s[48:49]
	s_mov_b32 s48, 0
	s_add_nc_u64 s[44:45], s[24:25], s[46:47]
	s_delay_alu instid0(SALU_CYCLE_1)
	s_add_nc_u64 s[46:47], s[44:45], s[50:51]
	s_lshl_b64 s[44:45], s[28:29], 27
	s_add_nc_u64 s[46:47], s[46:47], s[52:53]
.LBB26_5:                               ;   Parent Loop BB26_3 Depth=1
                                        ; =>  This Inner Loop Header: Depth=2
	s_delay_alu instid0(SALU_CYCLE_1) | instskip(SKIP_2) | instid1(VALU_DEP_2)
	v_mad_nc_i64_i32 v[10:11], v7, 20, s[46:47]
	v_bfe_u32 v0, v8, 1, 4
	v_add_nc_u64_e32 v[6:7], s[44:45], v[6:7]
	v_add_nc_u64_e32 v[12:13], v[10:11], v[0:1]
	v_and_or_b32 v0, 0xffffffe0, v8, v0
	v_add_nc_u64_e32 v[8:9], s[28:29], v[8:9]
	s_clause 0x1
	global_load_b32 v14, v[10:11], off
	global_load_u8 v15, v[12:13], off offset:4
	v_cmp_le_i64_e32 vcc_lo, s[20:21], v[8:9]
	s_or_b32 s48, vcc_lo, s48
	s_wait_loadcnt 0x0
	s_wait_xcnt 0x1
	v_dual_lshrrev_b32 v11, 4, v15 :: v_dual_bitop2_b32 v10, 15, v15 bitop3:0x40
	s_delay_alu instid0(VALU_DEP_1) | instskip(NEXT) | instid1(VALU_DEP_2)
	v_cvt_f32_ubyte0_e32 v10, v10
	v_cvt_f32_ubyte0_e32 v11, v11
	s_delay_alu instid0(VALU_DEP_2) | instskip(NEXT) | instid1(VALU_DEP_2)
	v_fma_mixlo_f16 v10, v14, v10, v14 op_sel:[0,0,1] op_sel_hi:[1,0,1]
	v_fma_mixlo_f16 v11, v14, v11, v14 op_sel:[0,0,1] op_sel_hi:[1,0,1]
	s_clause 0x1
	global_store_b16 v0, v10, s[42:43] scale_offset
	global_store_b16 v0, v11, s[42:43] offset:32 scale_offset
	s_wait_xcnt 0x0
	s_and_not1_b32 exec_lo, exec_lo, s48
	s_cbranch_execnz .LBB26_5
	s_branch .LBB26_2
.LBB26_6:
	s_endpgm
	.section	.rodata,"a",@progbits
	.p2align	6, 0x0
	.amdhsa_kernel _ZL10k_get_rowsILi32ELi2EXadL_ZL15dequantize_q4_1PKvliR15HIP_vector_typeIfLj2EEEE6__halfEvS1_PKiPT2_llS2_IjLj3EEmmmmmmmmm
		.amdhsa_group_segment_fixed_size 0
		.amdhsa_private_segment_fixed_size 0
		.amdhsa_kernarg_size 384
		.amdhsa_user_sgpr_count 2
		.amdhsa_user_sgpr_dispatch_ptr 0
		.amdhsa_user_sgpr_queue_ptr 0
		.amdhsa_user_sgpr_kernarg_segment_ptr 1
		.amdhsa_user_sgpr_dispatch_id 0
		.amdhsa_user_sgpr_kernarg_preload_length 0
		.amdhsa_user_sgpr_kernarg_preload_offset 0
		.amdhsa_user_sgpr_private_segment_size 0
		.amdhsa_wavefront_size32 1
		.amdhsa_uses_dynamic_stack 0
		.amdhsa_enable_private_segment 0
		.amdhsa_system_sgpr_workgroup_id_x 1
		.amdhsa_system_sgpr_workgroup_id_y 1
		.amdhsa_system_sgpr_workgroup_id_z 1
		.amdhsa_system_sgpr_workgroup_info 0
		.amdhsa_system_vgpr_workitem_id 0
		.amdhsa_next_free_vgpr 16
		.amdhsa_next_free_sgpr 54
		.amdhsa_named_barrier_count 0
		.amdhsa_reserve_vcc 1
		.amdhsa_float_round_mode_32 0
		.amdhsa_float_round_mode_16_64 0
		.amdhsa_float_denorm_mode_32 3
		.amdhsa_float_denorm_mode_16_64 3
		.amdhsa_fp16_overflow 0
		.amdhsa_memory_ordered 1
		.amdhsa_forward_progress 1
		.amdhsa_inst_pref_size 6
		.amdhsa_round_robin_scheduling 0
		.amdhsa_exception_fp_ieee_invalid_op 0
		.amdhsa_exception_fp_denorm_src 0
		.amdhsa_exception_fp_ieee_div_zero 0
		.amdhsa_exception_fp_ieee_overflow 0
		.amdhsa_exception_fp_ieee_underflow 0
		.amdhsa_exception_fp_ieee_inexact 0
		.amdhsa_exception_int_div_zero 0
	.end_amdhsa_kernel
	.section	.text._ZL10k_get_rowsILi32ELi2EXadL_ZL15dequantize_q4_1PKvliR15HIP_vector_typeIfLj2EEEE6__halfEvS1_PKiPT2_llS2_IjLj3EEmmmmmmmmm,"axG",@progbits,_ZL10k_get_rowsILi32ELi2EXadL_ZL15dequantize_q4_1PKvliR15HIP_vector_typeIfLj2EEEE6__halfEvS1_PKiPT2_llS2_IjLj3EEmmmmmmmmm,comdat
.Lfunc_end26:
	.size	_ZL10k_get_rowsILi32ELi2EXadL_ZL15dequantize_q4_1PKvliR15HIP_vector_typeIfLj2EEEE6__halfEvS1_PKiPT2_llS2_IjLj3EEmmmmmmmmm, .Lfunc_end26-_ZL10k_get_rowsILi32ELi2EXadL_ZL15dequantize_q4_1PKvliR15HIP_vector_typeIfLj2EEEE6__halfEvS1_PKiPT2_llS2_IjLj3EEmmmmmmmmm
                                        ; -- End function
	.set _ZL10k_get_rowsILi32ELi2EXadL_ZL15dequantize_q4_1PKvliR15HIP_vector_typeIfLj2EEEE6__halfEvS1_PKiPT2_llS2_IjLj3EEmmmmmmmmm.num_vgpr, 16
	.set _ZL10k_get_rowsILi32ELi2EXadL_ZL15dequantize_q4_1PKvliR15HIP_vector_typeIfLj2EEEE6__halfEvS1_PKiPT2_llS2_IjLj3EEmmmmmmmmm.num_agpr, 0
	.set _ZL10k_get_rowsILi32ELi2EXadL_ZL15dequantize_q4_1PKvliR15HIP_vector_typeIfLj2EEEE6__halfEvS1_PKiPT2_llS2_IjLj3EEmmmmmmmmm.numbered_sgpr, 54
	.set _ZL10k_get_rowsILi32ELi2EXadL_ZL15dequantize_q4_1PKvliR15HIP_vector_typeIfLj2EEEE6__halfEvS1_PKiPT2_llS2_IjLj3EEmmmmmmmmm.num_named_barrier, 0
	.set _ZL10k_get_rowsILi32ELi2EXadL_ZL15dequantize_q4_1PKvliR15HIP_vector_typeIfLj2EEEE6__halfEvS1_PKiPT2_llS2_IjLj3EEmmmmmmmmm.private_seg_size, 0
	.set _ZL10k_get_rowsILi32ELi2EXadL_ZL15dequantize_q4_1PKvliR15HIP_vector_typeIfLj2EEEE6__halfEvS1_PKiPT2_llS2_IjLj3EEmmmmmmmmm.uses_vcc, 1
	.set _ZL10k_get_rowsILi32ELi2EXadL_ZL15dequantize_q4_1PKvliR15HIP_vector_typeIfLj2EEEE6__halfEvS1_PKiPT2_llS2_IjLj3EEmmmmmmmmm.uses_flat_scratch, 0
	.set _ZL10k_get_rowsILi32ELi2EXadL_ZL15dequantize_q4_1PKvliR15HIP_vector_typeIfLj2EEEE6__halfEvS1_PKiPT2_llS2_IjLj3EEmmmmmmmmm.has_dyn_sized_stack, 0
	.set _ZL10k_get_rowsILi32ELi2EXadL_ZL15dequantize_q4_1PKvliR15HIP_vector_typeIfLj2EEEE6__halfEvS1_PKiPT2_llS2_IjLj3EEmmmmmmmmm.has_recursion, 0
	.set _ZL10k_get_rowsILi32ELi2EXadL_ZL15dequantize_q4_1PKvliR15HIP_vector_typeIfLj2EEEE6__halfEvS1_PKiPT2_llS2_IjLj3EEmmmmmmmmm.has_indirect_call, 0
	.section	.AMDGPU.csdata,"",@progbits
; Kernel info:
; codeLenInByte = 716
; TotalNumSgprs: 56
; NumVgprs: 16
; ScratchSize: 0
; MemoryBound: 0
; FloatMode: 240
; IeeeMode: 1
; LDSByteSize: 0 bytes/workgroup (compile time only)
; SGPRBlocks: 0
; VGPRBlocks: 0
; NumSGPRsForWavesPerEU: 56
; NumVGPRsForWavesPerEU: 16
; NamedBarCnt: 0
; Occupancy: 16
; WaveLimiterHint : 1
; COMPUTE_PGM_RSRC2:SCRATCH_EN: 0
; COMPUTE_PGM_RSRC2:USER_SGPR: 2
; COMPUTE_PGM_RSRC2:TRAP_HANDLER: 0
; COMPUTE_PGM_RSRC2:TGID_X_EN: 1
; COMPUTE_PGM_RSRC2:TGID_Y_EN: 1
; COMPUTE_PGM_RSRC2:TGID_Z_EN: 1
; COMPUTE_PGM_RSRC2:TIDIG_COMP_CNT: 0
	.section	.text._ZL10k_get_rowsILi32ELi2EXadL_ZL15dequantize_q5_0PKvliR15HIP_vector_typeIfLj2EEEE6__halfEvS1_PKiPT2_llS2_IjLj3EEmmmmmmmmm,"axG",@progbits,_ZL10k_get_rowsILi32ELi2EXadL_ZL15dequantize_q5_0PKvliR15HIP_vector_typeIfLj2EEEE6__halfEvS1_PKiPT2_llS2_IjLj3EEmmmmmmmmm,comdat
	.globl	_ZL10k_get_rowsILi32ELi2EXadL_ZL15dequantize_q5_0PKvliR15HIP_vector_typeIfLj2EEEE6__halfEvS1_PKiPT2_llS2_IjLj3EEmmmmmmmmm ; -- Begin function _ZL10k_get_rowsILi32ELi2EXadL_ZL15dequantize_q5_0PKvliR15HIP_vector_typeIfLj2EEEE6__halfEvS1_PKiPT2_llS2_IjLj3EEmmmmmmmmm
	.p2align	8
	.type	_ZL10k_get_rowsILi32ELi2EXadL_ZL15dequantize_q5_0PKvliR15HIP_vector_typeIfLj2EEEE6__halfEvS1_PKiPT2_llS2_IjLj3EEmmmmmmmmm,@function
_ZL10k_get_rowsILi32ELi2EXadL_ZL15dequantize_q5_0PKvliR15HIP_vector_typeIfLj2EEEE6__halfEvS1_PKiPT2_llS2_IjLj3EEmmmmmmmmm: ; @_ZL10k_get_rowsILi32ELi2EXadL_ZL15dequantize_q5_0PKvliR15HIP_vector_typeIfLj2EEEE6__halfEvS1_PKiPT2_llS2_IjLj3EEmmmmmmmmm
; %bb.0:
	s_clause 0x1
	s_load_b64 s[2:3], s[0:1], 0x2c
	s_load_b128 s[20:23], s[0:1], 0x18
	s_bfe_u32 s4, ttmp6, 0x40014
	s_lshr_b32 s6, ttmp7, 16
	s_add_co_i32 s4, s4, 1
	s_bfe_u32 s5, ttmp6, 0x40008
	s_mul_i32 s4, s6, s4
	s_mov_b32 s29, 0
	s_getreg_b32 s38, hwreg(HW_REG_IB_STS2, 6, 4)
	s_add_co_i32 s7, s5, s4
	s_cmp_eq_u32 s38, 0
	s_mov_b32 s5, s29
	s_cselect_b32 s28, s6, s7
	s_wait_kmcnt 0x0
	s_mov_b32 s4, s3
	s_delay_alu instid0(SALU_CYCLE_1) | instskip(NEXT) | instid1(SALU_CYCLE_1)
	s_mul_u64 s[22:23], s[22:23], s[4:5]
	v_cmp_le_i64_e64 s4, s[22:23], s[28:29]
	s_and_b32 vcc_lo, exec_lo, s4
	s_cbranch_vccnz .LBB27_6
; %bb.1:
	s_clause 0x5
	s_load_b64 s[30:31], s[0:1], 0x88
	s_load_b64 s[34:35], s[0:1], 0x78
	s_load_b128 s[24:27], s[0:1], 0x0
	s_load_b64 s[40:41], s[0:1], 0x10
	s_load_b32 s36, s[0:1], 0x28
	s_load_b512 s[4:19], s[0:1], 0x38
	s_bfe_u32 s39, ttmp6, 0x4000c
	s_bfe_u32 s43, ttmp6, 0x40010
	s_and_b32 s42, ttmp7, 0xffff
	s_add_co_i32 s39, s39, 1
	s_add_co_i32 s43, s43, 1
	s_and_b32 s33, ttmp6, 15
	s_bfe_u32 s44, ttmp6, 0x40004
	s_mul_i32 s39, ttmp9, s39
	s_mul_i32 s43, s42, s43
	s_add_co_i32 s39, s33, s39
	s_add_co_i32 s44, s44, s43
	v_mov_b32_e32 v1, 0
	s_mov_b32 s37, s29
	s_wait_kmcnt 0x0
	s_and_b32 s33, s31, 0xffff
	s_cmp_eq_u32 s38, 0
	s_cselect_b32 s31, s42, s44
	s_cselect_b32 s42, ttmp9, s39
	s_mul_i32 s31, s31, s33
	s_ashr_i32 s43, s42, 31
	v_add_lshl_u32 v0, s31, v0, 1
	s_add_nc_u64 s[38:39], s[0:1], 0x80
	s_mul_u64 s[0:1], s[16:17], s[42:43]
	s_mul_u64 s[16:17], s[4:5], s[42:43]
	s_lshl_b64 s[42:43], s[0:1], 2
	v_mov_b64_e32 v[2:3], v[0:1]
	v_cmp_gt_i64_e64 s0, s[20:21], v[0:1]
	v_lshlrev_b64_e32 v[4:5], 27, v[0:1]
	s_lshl_b64 s[44:45], s[16:17], 1
	s_mov_b64 s[4:5], 0xffffffff
	s_add_nc_u64 s[16:17], s[26:27], s[42:43]
	s_add_nc_u64 s[26:27], s[40:41], s[44:45]
	s_mov_b32 s31, s29
	s_mov_b64 s[40:41], s[28:29]
	s_branch .LBB27_3
.LBB27_2:                               ;   in Loop: Header=BB27_3 Depth=1
	s_or_b32 exec_lo, exec_lo, s1
	s_add_nc_u64 s[40:41], s[40:41], s[30:31]
	s_delay_alu instid0(SALU_CYCLE_1)
	v_cmp_ge_i64_e64 s1, s[40:41], s[22:23]
	s_and_b32 vcc_lo, exec_lo, s1
	s_cbranch_vccnz .LBB27_6
.LBB27_3:                               ; =>This Loop Header: Depth=1
                                        ;     Child Loop BB27_5 Depth 2
	s_and_saveexec_b32 s1, s0
	s_cbranch_execz .LBB27_2
; %bb.4:                                ;   in Loop: Header=BB27_3 Depth=1
	s_and_b64 s[42:43], s[40:41], s[4:5]
	v_mov_b64_e32 v[6:7], v[4:5]
	s_mul_u64 s[42:43], s[42:43], s[36:37]
	v_mov_b64_e32 v[8:9], v[2:3]
	s_add_co_i32 s28, s43, s40
	s_delay_alu instid0(SALU_CYCLE_1) | instskip(NEXT) | instid1(SALU_CYCLE_1)
	s_lshr_b32 s42, s28, s2
	s_mul_i32 s28, s42, s3
	s_ashr_i32 s43, s42, 31
	s_sub_co_i32 s44, s40, s28
	s_mul_u64 s[46:47], s[18:19], s[42:43]
	s_ashr_i32 s45, s44, 31
	s_lshl_b64 s[46:47], s[46:47], 2
	s_mul_u64 s[48:49], s[34:35], s[44:45]
	s_add_nc_u64 s[46:47], s[16:17], s[46:47]
	s_lshl_b64 s[48:49], s[48:49], 2
	s_mul_u64 s[50:51], s[12:13], s[42:43]
	s_add_nc_u64 s[46:47], s[46:47], s[48:49]
	s_mul_u64 s[52:53], s[14:15], s[44:45]
	s_load_b32 s48, s[46:47], 0x0
	s_load_b32 s28, s[38:39], 0x4
	s_wait_xcnt 0x0
	s_mul_u64 s[46:47], s[6:7], s[42:43]
	s_delay_alu instid0(SALU_CYCLE_1) | instskip(NEXT) | instid1(SALU_CYCLE_1)
	s_lshl_b64 s[46:47], s[46:47], 1
	s_add_nc_u64 s[42:43], s[26:27], s[46:47]
	s_mul_u64 s[46:47], s[8:9], s[44:45]
	s_delay_alu instid0(SALU_CYCLE_1) | instskip(NEXT) | instid1(SALU_CYCLE_1)
	s_lshl_b64 s[44:45], s[46:47], 1
	s_add_nc_u64 s[42:43], s[42:43], s[44:45]
	s_wait_kmcnt 0x0
	s_ashr_i32 s49, s48, 31
	s_mul_i32 s28, s28, s33
	s_mul_u64 s[46:47], s[10:11], s[48:49]
	s_mov_b32 s48, 0
	s_add_nc_u64 s[44:45], s[24:25], s[46:47]
	s_delay_alu instid0(SALU_CYCLE_1)
	s_add_nc_u64 s[46:47], s[44:45], s[50:51]
	s_lshl_b64 s[44:45], s[28:29], 27
	s_add_nc_u64 s[46:47], s[46:47], s[52:53]
.LBB27_5:                               ;   Parent Loop BB27_3 Depth=1
                                        ; =>  This Inner Loop Header: Depth=2
	s_delay_alu instid0(SALU_CYCLE_1) | instskip(SKIP_2) | instid1(VALU_DEP_2)
	v_mad_nc_i64_i32 v[10:11], v7, 22, s[46:47]
	v_bfe_u32 v0, v8, 1, 4
	v_add_nc_u64_e32 v[6:7], s[44:45], v[6:7]
	v_add_nc_u64_e32 v[12:13], v[10:11], v[0:1]
	s_clause 0x2
	global_load_b32 v14, v[10:11], off
	global_load_u16 v15, v[10:11], off offset:4
	global_load_u8 v16, v[12:13], off offset:6
	s_wait_loadcnt 0x1
	s_wait_xcnt 0x1
	v_perm_b32 v10, v14, v15, 0x1000706
	v_add_nc_u32_e32 v11, 12, v0
	s_wait_loadcnt 0x0
	s_wait_xcnt 0x0
	v_lshrrev_b16 v13, 4, v16
	s_delay_alu instid0(VALU_DEP_2) | instskip(SKIP_2) | instid1(VALU_DEP_3)
	v_dual_lshrrev_b32 v12, v0, v10 :: v_dual_lshrrev_b32 v10, v11, v10
	v_and_or_b32 v0, 0xffffffe0, v8, v0
	v_add_nc_u64_e32 v[8:9], s[28:29], v[8:9]
	v_dual_lshlrev_b32 v11, 4, v12 :: v_dual_bitop2_b32 v10, 16, v10 bitop3:0x40
	s_delay_alu instid0(VALU_DEP_2) | instskip(NEXT) | instid1(VALU_DEP_2)
	v_cmp_le_i64_e32 vcc_lo, s[20:21], v[8:9]
	v_and_b32_e32 v11, 16, v11
	v_or_b32_e32 v12, -16, v13
	v_or_b32_e32 v13, -16, v16
	s_or_b32 s48, vcc_lo, s48
	s_delay_alu instid0(VALU_DEP_1) | instskip(NEXT) | instid1(VALU_DEP_3)
	v_add_nc_u32_e32 v11, v13, v11
	v_bfe_i32 v12, v12, 0, 16
	s_delay_alu instid0(VALU_DEP_2) | instskip(NEXT) | instid1(VALU_DEP_2)
	v_cvt_f32_i32_e32 v11, v11
	v_add_nc_u32_e32 v10, v10, v12
	s_delay_alu instid0(VALU_DEP_2) | instskip(NEXT) | instid1(VALU_DEP_2)
	v_fma_mixlo_f16 v11, v14, v11, 0 op_sel_hi:[1,0,0]
	v_cvt_f32_i32_e32 v10, v10
	s_delay_alu instid0(VALU_DEP_1)
	v_fma_mixlo_f16 v10, v14, v10, 0 op_sel_hi:[1,0,0]
	s_clause 0x1
	global_store_b16 v0, v11, s[42:43] scale_offset
	global_store_b16 v0, v10, s[42:43] offset:32 scale_offset
	s_wait_xcnt 0x0
	s_and_not1_b32 exec_lo, exec_lo, s48
	s_cbranch_execnz .LBB27_5
	s_branch .LBB27_2
.LBB27_6:
	s_endpgm
	.section	.rodata,"a",@progbits
	.p2align	6, 0x0
	.amdhsa_kernel _ZL10k_get_rowsILi32ELi2EXadL_ZL15dequantize_q5_0PKvliR15HIP_vector_typeIfLj2EEEE6__halfEvS1_PKiPT2_llS2_IjLj3EEmmmmmmmmm
		.amdhsa_group_segment_fixed_size 0
		.amdhsa_private_segment_fixed_size 0
		.amdhsa_kernarg_size 384
		.amdhsa_user_sgpr_count 2
		.amdhsa_user_sgpr_dispatch_ptr 0
		.amdhsa_user_sgpr_queue_ptr 0
		.amdhsa_user_sgpr_kernarg_segment_ptr 1
		.amdhsa_user_sgpr_dispatch_id 0
		.amdhsa_user_sgpr_kernarg_preload_length 0
		.amdhsa_user_sgpr_kernarg_preload_offset 0
		.amdhsa_user_sgpr_private_segment_size 0
		.amdhsa_wavefront_size32 1
		.amdhsa_uses_dynamic_stack 0
		.amdhsa_enable_private_segment 0
		.amdhsa_system_sgpr_workgroup_id_x 1
		.amdhsa_system_sgpr_workgroup_id_y 1
		.amdhsa_system_sgpr_workgroup_id_z 1
		.amdhsa_system_sgpr_workgroup_info 0
		.amdhsa_system_vgpr_workitem_id 0
		.amdhsa_next_free_vgpr 17
		.amdhsa_next_free_sgpr 54
		.amdhsa_named_barrier_count 0
		.amdhsa_reserve_vcc 1
		.amdhsa_float_round_mode_32 0
		.amdhsa_float_round_mode_16_64 0
		.amdhsa_float_denorm_mode_32 3
		.amdhsa_float_denorm_mode_16_64 3
		.amdhsa_fp16_overflow 0
		.amdhsa_memory_ordered 1
		.amdhsa_forward_progress 1
		.amdhsa_inst_pref_size 7
		.amdhsa_round_robin_scheduling 0
		.amdhsa_exception_fp_ieee_invalid_op 0
		.amdhsa_exception_fp_denorm_src 0
		.amdhsa_exception_fp_ieee_div_zero 0
		.amdhsa_exception_fp_ieee_overflow 0
		.amdhsa_exception_fp_ieee_underflow 0
		.amdhsa_exception_fp_ieee_inexact 0
		.amdhsa_exception_int_div_zero 0
	.end_amdhsa_kernel
	.section	.text._ZL10k_get_rowsILi32ELi2EXadL_ZL15dequantize_q5_0PKvliR15HIP_vector_typeIfLj2EEEE6__halfEvS1_PKiPT2_llS2_IjLj3EEmmmmmmmmm,"axG",@progbits,_ZL10k_get_rowsILi32ELi2EXadL_ZL15dequantize_q5_0PKvliR15HIP_vector_typeIfLj2EEEE6__halfEvS1_PKiPT2_llS2_IjLj3EEmmmmmmmmm,comdat
.Lfunc_end27:
	.size	_ZL10k_get_rowsILi32ELi2EXadL_ZL15dequantize_q5_0PKvliR15HIP_vector_typeIfLj2EEEE6__halfEvS1_PKiPT2_llS2_IjLj3EEmmmmmmmmm, .Lfunc_end27-_ZL10k_get_rowsILi32ELi2EXadL_ZL15dequantize_q5_0PKvliR15HIP_vector_typeIfLj2EEEE6__halfEvS1_PKiPT2_llS2_IjLj3EEmmmmmmmmm
                                        ; -- End function
	.set _ZL10k_get_rowsILi32ELi2EXadL_ZL15dequantize_q5_0PKvliR15HIP_vector_typeIfLj2EEEE6__halfEvS1_PKiPT2_llS2_IjLj3EEmmmmmmmmm.num_vgpr, 17
	.set _ZL10k_get_rowsILi32ELi2EXadL_ZL15dequantize_q5_0PKvliR15HIP_vector_typeIfLj2EEEE6__halfEvS1_PKiPT2_llS2_IjLj3EEmmmmmmmmm.num_agpr, 0
	.set _ZL10k_get_rowsILi32ELi2EXadL_ZL15dequantize_q5_0PKvliR15HIP_vector_typeIfLj2EEEE6__halfEvS1_PKiPT2_llS2_IjLj3EEmmmmmmmmm.numbered_sgpr, 54
	.set _ZL10k_get_rowsILi32ELi2EXadL_ZL15dequantize_q5_0PKvliR15HIP_vector_typeIfLj2EEEE6__halfEvS1_PKiPT2_llS2_IjLj3EEmmmmmmmmm.num_named_barrier, 0
	.set _ZL10k_get_rowsILi32ELi2EXadL_ZL15dequantize_q5_0PKvliR15HIP_vector_typeIfLj2EEEE6__halfEvS1_PKiPT2_llS2_IjLj3EEmmmmmmmmm.private_seg_size, 0
	.set _ZL10k_get_rowsILi32ELi2EXadL_ZL15dequantize_q5_0PKvliR15HIP_vector_typeIfLj2EEEE6__halfEvS1_PKiPT2_llS2_IjLj3EEmmmmmmmmm.uses_vcc, 1
	.set _ZL10k_get_rowsILi32ELi2EXadL_ZL15dequantize_q5_0PKvliR15HIP_vector_typeIfLj2EEEE6__halfEvS1_PKiPT2_llS2_IjLj3EEmmmmmmmmm.uses_flat_scratch, 0
	.set _ZL10k_get_rowsILi32ELi2EXadL_ZL15dequantize_q5_0PKvliR15HIP_vector_typeIfLj2EEEE6__halfEvS1_PKiPT2_llS2_IjLj3EEmmmmmmmmm.has_dyn_sized_stack, 0
	.set _ZL10k_get_rowsILi32ELi2EXadL_ZL15dequantize_q5_0PKvliR15HIP_vector_typeIfLj2EEEE6__halfEvS1_PKiPT2_llS2_IjLj3EEmmmmmmmmm.has_recursion, 0
	.set _ZL10k_get_rowsILi32ELi2EXadL_ZL15dequantize_q5_0PKvliR15HIP_vector_typeIfLj2EEEE6__halfEvS1_PKiPT2_llS2_IjLj3EEmmmmmmmmm.has_indirect_call, 0
	.section	.AMDGPU.csdata,"",@progbits
; Kernel info:
; codeLenInByte = 816
; TotalNumSgprs: 56
; NumVgprs: 17
; ScratchSize: 0
; MemoryBound: 0
; FloatMode: 240
; IeeeMode: 1
; LDSByteSize: 0 bytes/workgroup (compile time only)
; SGPRBlocks: 0
; VGPRBlocks: 1
; NumSGPRsForWavesPerEU: 56
; NumVGPRsForWavesPerEU: 17
; NamedBarCnt: 0
; Occupancy: 16
; WaveLimiterHint : 1
; COMPUTE_PGM_RSRC2:SCRATCH_EN: 0
; COMPUTE_PGM_RSRC2:USER_SGPR: 2
; COMPUTE_PGM_RSRC2:TRAP_HANDLER: 0
; COMPUTE_PGM_RSRC2:TGID_X_EN: 1
; COMPUTE_PGM_RSRC2:TGID_Y_EN: 1
; COMPUTE_PGM_RSRC2:TGID_Z_EN: 1
; COMPUTE_PGM_RSRC2:TIDIG_COMP_CNT: 0
	.section	.text._ZL10k_get_rowsILi32ELi2EXadL_ZL15dequantize_q5_1PKvliR15HIP_vector_typeIfLj2EEEE6__halfEvS1_PKiPT2_llS2_IjLj3EEmmmmmmmmm,"axG",@progbits,_ZL10k_get_rowsILi32ELi2EXadL_ZL15dequantize_q5_1PKvliR15HIP_vector_typeIfLj2EEEE6__halfEvS1_PKiPT2_llS2_IjLj3EEmmmmmmmmm,comdat
	.globl	_ZL10k_get_rowsILi32ELi2EXadL_ZL15dequantize_q5_1PKvliR15HIP_vector_typeIfLj2EEEE6__halfEvS1_PKiPT2_llS2_IjLj3EEmmmmmmmmm ; -- Begin function _ZL10k_get_rowsILi32ELi2EXadL_ZL15dequantize_q5_1PKvliR15HIP_vector_typeIfLj2EEEE6__halfEvS1_PKiPT2_llS2_IjLj3EEmmmmmmmmm
	.p2align	8
	.type	_ZL10k_get_rowsILi32ELi2EXadL_ZL15dequantize_q5_1PKvliR15HIP_vector_typeIfLj2EEEE6__halfEvS1_PKiPT2_llS2_IjLj3EEmmmmmmmmm,@function
_ZL10k_get_rowsILi32ELi2EXadL_ZL15dequantize_q5_1PKvliR15HIP_vector_typeIfLj2EEEE6__halfEvS1_PKiPT2_llS2_IjLj3EEmmmmmmmmm: ; @_ZL10k_get_rowsILi32ELi2EXadL_ZL15dequantize_q5_1PKvliR15HIP_vector_typeIfLj2EEEE6__halfEvS1_PKiPT2_llS2_IjLj3EEmmmmmmmmm
; %bb.0:
	s_clause 0x1
	s_load_b64 s[2:3], s[0:1], 0x2c
	s_load_b128 s[20:23], s[0:1], 0x18
	s_bfe_u32 s4, ttmp6, 0x40014
	s_lshr_b32 s6, ttmp7, 16
	s_add_co_i32 s4, s4, 1
	s_bfe_u32 s5, ttmp6, 0x40008
	s_mul_i32 s4, s6, s4
	s_mov_b32 s29, 0
	s_getreg_b32 s38, hwreg(HW_REG_IB_STS2, 6, 4)
	s_add_co_i32 s7, s5, s4
	s_cmp_eq_u32 s38, 0
	s_mov_b32 s5, s29
	s_cselect_b32 s28, s6, s7
	s_wait_kmcnt 0x0
	s_mov_b32 s4, s3
	s_delay_alu instid0(SALU_CYCLE_1) | instskip(NEXT) | instid1(SALU_CYCLE_1)
	s_mul_u64 s[22:23], s[22:23], s[4:5]
	v_cmp_le_i64_e64 s4, s[22:23], s[28:29]
	s_and_b32 vcc_lo, exec_lo, s4
	s_cbranch_vccnz .LBB28_6
; %bb.1:
	s_clause 0x5
	s_load_b64 s[30:31], s[0:1], 0x88
	s_load_b64 s[34:35], s[0:1], 0x78
	s_load_b128 s[24:27], s[0:1], 0x0
	s_load_b64 s[40:41], s[0:1], 0x10
	s_load_b32 s36, s[0:1], 0x28
	s_load_b512 s[4:19], s[0:1], 0x38
	s_bfe_u32 s39, ttmp6, 0x4000c
	s_bfe_u32 s43, ttmp6, 0x40010
	s_and_b32 s42, ttmp7, 0xffff
	s_add_co_i32 s39, s39, 1
	s_add_co_i32 s43, s43, 1
	s_and_b32 s33, ttmp6, 15
	s_bfe_u32 s44, ttmp6, 0x40004
	s_mul_i32 s39, ttmp9, s39
	s_mul_i32 s43, s42, s43
	s_add_co_i32 s39, s33, s39
	s_add_co_i32 s44, s44, s43
	v_mov_b32_e32 v1, 0
	s_mov_b32 s37, s29
	s_wait_kmcnt 0x0
	s_and_b32 s33, s31, 0xffff
	s_cmp_eq_u32 s38, 0
	s_cselect_b32 s31, s42, s44
	s_cselect_b32 s42, ttmp9, s39
	s_mul_i32 s31, s31, s33
	s_ashr_i32 s43, s42, 31
	v_add_lshl_u32 v0, s31, v0, 1
	s_add_nc_u64 s[38:39], s[0:1], 0x80
	s_mul_u64 s[0:1], s[16:17], s[42:43]
	s_mul_u64 s[16:17], s[4:5], s[42:43]
	s_lshl_b64 s[42:43], s[0:1], 2
	v_mov_b64_e32 v[2:3], v[0:1]
	v_cmp_gt_i64_e64 s0, s[20:21], v[0:1]
	v_lshlrev_b64_e32 v[4:5], 27, v[0:1]
	s_lshl_b64 s[44:45], s[16:17], 1
	s_mov_b64 s[4:5], 0xffffffff
	s_add_nc_u64 s[16:17], s[26:27], s[42:43]
	s_add_nc_u64 s[26:27], s[40:41], s[44:45]
	s_mov_b32 s31, s29
	s_mov_b64 s[40:41], s[28:29]
	s_branch .LBB28_3
.LBB28_2:                               ;   in Loop: Header=BB28_3 Depth=1
	s_or_b32 exec_lo, exec_lo, s1
	s_add_nc_u64 s[40:41], s[40:41], s[30:31]
	s_delay_alu instid0(SALU_CYCLE_1)
	v_cmp_ge_i64_e64 s1, s[40:41], s[22:23]
	s_and_b32 vcc_lo, exec_lo, s1
	s_cbranch_vccnz .LBB28_6
.LBB28_3:                               ; =>This Loop Header: Depth=1
                                        ;     Child Loop BB28_5 Depth 2
	s_and_saveexec_b32 s1, s0
	s_cbranch_execz .LBB28_2
; %bb.4:                                ;   in Loop: Header=BB28_3 Depth=1
	s_and_b64 s[42:43], s[40:41], s[4:5]
	v_mov_b64_e32 v[6:7], v[4:5]
	s_mul_u64 s[42:43], s[42:43], s[36:37]
	v_mov_b64_e32 v[8:9], v[2:3]
	s_add_co_i32 s28, s43, s40
	s_delay_alu instid0(SALU_CYCLE_1) | instskip(NEXT) | instid1(SALU_CYCLE_1)
	s_lshr_b32 s42, s28, s2
	s_mul_i32 s28, s42, s3
	s_ashr_i32 s43, s42, 31
	s_sub_co_i32 s44, s40, s28
	s_mul_u64 s[46:47], s[18:19], s[42:43]
	s_ashr_i32 s45, s44, 31
	s_lshl_b64 s[46:47], s[46:47], 2
	s_mul_u64 s[48:49], s[34:35], s[44:45]
	s_add_nc_u64 s[46:47], s[16:17], s[46:47]
	s_lshl_b64 s[48:49], s[48:49], 2
	s_mul_u64 s[50:51], s[12:13], s[42:43]
	s_add_nc_u64 s[46:47], s[46:47], s[48:49]
	s_mul_u64 s[52:53], s[14:15], s[44:45]
	s_load_b32 s48, s[46:47], 0x0
	s_load_b32 s28, s[38:39], 0x4
	s_wait_xcnt 0x0
	s_mul_u64 s[46:47], s[6:7], s[42:43]
	s_delay_alu instid0(SALU_CYCLE_1) | instskip(NEXT) | instid1(SALU_CYCLE_1)
	s_lshl_b64 s[46:47], s[46:47], 1
	s_add_nc_u64 s[42:43], s[26:27], s[46:47]
	s_mul_u64 s[46:47], s[8:9], s[44:45]
	s_delay_alu instid0(SALU_CYCLE_1) | instskip(NEXT) | instid1(SALU_CYCLE_1)
	s_lshl_b64 s[44:45], s[46:47], 1
	s_add_nc_u64 s[42:43], s[42:43], s[44:45]
	s_wait_kmcnt 0x0
	s_ashr_i32 s49, s48, 31
	s_mul_i32 s28, s28, s33
	s_mul_u64 s[46:47], s[10:11], s[48:49]
	s_mov_b32 s48, 0
	s_add_nc_u64 s[44:45], s[24:25], s[46:47]
	s_delay_alu instid0(SALU_CYCLE_1)
	s_add_nc_u64 s[46:47], s[44:45], s[50:51]
	s_lshl_b64 s[44:45], s[28:29], 27
	s_add_nc_u64 s[46:47], s[46:47], s[52:53]
.LBB28_5:                               ;   Parent Loop BB28_3 Depth=1
                                        ; =>  This Inner Loop Header: Depth=2
	s_delay_alu instid0(SALU_CYCLE_1) | instskip(SKIP_2) | instid1(VALU_DEP_2)
	v_mad_nc_i64_i32 v[10:11], v7, 24, s[46:47]
	v_bfe_u32 v0, v8, 1, 4
	v_add_nc_u64_e32 v[6:7], s[44:45], v[6:7]
	v_add_nc_u64_e32 v[12:13], v[10:11], v[0:1]
	s_clause 0x1
	global_load_b64 v[14:15], v[10:11], off
	global_load_u8 v16, v[12:13], off offset:8
	s_wait_loadcnt 0x1
	s_wait_xcnt 0x1
	v_dual_add_nc_u32 v10, 12, v0 :: v_dual_lshrrev_b32 v11, v0, v15
	s_wait_loadcnt 0x0
	s_wait_xcnt 0x0
	s_delay_alu instid0(VALU_DEP_1) | instskip(SKIP_4) | instid1(VALU_DEP_4)
	v_dual_lshrrev_b32 v10, v10, v15 :: v_dual_bitop2_b32 v12, 15, v16 bitop3:0x40
	v_lshrrev_b16 v13, 4, v16
	v_and_or_b32 v0, 0xffffffe0, v8, v0
	v_lshlrev_b32_e32 v11, 4, v11
	v_add_nc_u64_e32 v[8:9], s[28:29], v[8:9]
	v_and_or_b32 v10, v10, 16, v13
	s_delay_alu instid0(VALU_DEP_3) | instskip(NEXT) | instid1(VALU_DEP_2)
	v_and_or_b32 v11, v11, 16, v12
	v_cvt_f32_ubyte0_e32 v10, v10
	s_delay_alu instid0(VALU_DEP_4) | instskip(NEXT) | instid1(VALU_DEP_3)
	v_cmp_le_i64_e32 vcc_lo, s[20:21], v[8:9]
	v_cvt_f32_ubyte0_e32 v11, v11
	s_delay_alu instid0(VALU_DEP_3) | instskip(NEXT) | instid1(VALU_DEP_2)
	v_fma_mixlo_f16 v10, v14, v10, v14 op_sel:[0,0,1] op_sel_hi:[1,0,1]
	v_fma_mixlo_f16 v11, v14, v11, v14 op_sel:[0,0,1] op_sel_hi:[1,0,1]
	s_or_b32 s48, vcc_lo, s48
	s_clause 0x1
	global_store_b16 v0, v11, s[42:43] scale_offset
	global_store_b16 v0, v10, s[42:43] offset:32 scale_offset
	s_wait_xcnt 0x0
	s_and_not1_b32 exec_lo, exec_lo, s48
	s_cbranch_execnz .LBB28_5
	s_branch .LBB28_2
.LBB28_6:
	s_endpgm
	.section	.rodata,"a",@progbits
	.p2align	6, 0x0
	.amdhsa_kernel _ZL10k_get_rowsILi32ELi2EXadL_ZL15dequantize_q5_1PKvliR15HIP_vector_typeIfLj2EEEE6__halfEvS1_PKiPT2_llS2_IjLj3EEmmmmmmmmm
		.amdhsa_group_segment_fixed_size 0
		.amdhsa_private_segment_fixed_size 0
		.amdhsa_kernarg_size 384
		.amdhsa_user_sgpr_count 2
		.amdhsa_user_sgpr_dispatch_ptr 0
		.amdhsa_user_sgpr_queue_ptr 0
		.amdhsa_user_sgpr_kernarg_segment_ptr 1
		.amdhsa_user_sgpr_dispatch_id 0
		.amdhsa_user_sgpr_kernarg_preload_length 0
		.amdhsa_user_sgpr_kernarg_preload_offset 0
		.amdhsa_user_sgpr_private_segment_size 0
		.amdhsa_wavefront_size32 1
		.amdhsa_uses_dynamic_stack 0
		.amdhsa_enable_private_segment 0
		.amdhsa_system_sgpr_workgroup_id_x 1
		.amdhsa_system_sgpr_workgroup_id_y 1
		.amdhsa_system_sgpr_workgroup_id_z 1
		.amdhsa_system_sgpr_workgroup_info 0
		.amdhsa_system_vgpr_workitem_id 0
		.amdhsa_next_free_vgpr 17
		.amdhsa_next_free_sgpr 54
		.amdhsa_named_barrier_count 0
		.amdhsa_reserve_vcc 1
		.amdhsa_float_round_mode_32 0
		.amdhsa_float_round_mode_16_64 0
		.amdhsa_float_denorm_mode_32 3
		.amdhsa_float_denorm_mode_16_64 3
		.amdhsa_fp16_overflow 0
		.amdhsa_memory_ordered 1
		.amdhsa_forward_progress 1
		.amdhsa_inst_pref_size 7
		.amdhsa_round_robin_scheduling 0
		.amdhsa_exception_fp_ieee_invalid_op 0
		.amdhsa_exception_fp_denorm_src 0
		.amdhsa_exception_fp_ieee_div_zero 0
		.amdhsa_exception_fp_ieee_overflow 0
		.amdhsa_exception_fp_ieee_underflow 0
		.amdhsa_exception_fp_ieee_inexact 0
		.amdhsa_exception_int_div_zero 0
	.end_amdhsa_kernel
	.section	.text._ZL10k_get_rowsILi32ELi2EXadL_ZL15dequantize_q5_1PKvliR15HIP_vector_typeIfLj2EEEE6__halfEvS1_PKiPT2_llS2_IjLj3EEmmmmmmmmm,"axG",@progbits,_ZL10k_get_rowsILi32ELi2EXadL_ZL15dequantize_q5_1PKvliR15HIP_vector_typeIfLj2EEEE6__halfEvS1_PKiPT2_llS2_IjLj3EEmmmmmmmmm,comdat
.Lfunc_end28:
	.size	_ZL10k_get_rowsILi32ELi2EXadL_ZL15dequantize_q5_1PKvliR15HIP_vector_typeIfLj2EEEE6__halfEvS1_PKiPT2_llS2_IjLj3EEmmmmmmmmm, .Lfunc_end28-_ZL10k_get_rowsILi32ELi2EXadL_ZL15dequantize_q5_1PKvliR15HIP_vector_typeIfLj2EEEE6__halfEvS1_PKiPT2_llS2_IjLj3EEmmmmmmmmm
                                        ; -- End function
	.set _ZL10k_get_rowsILi32ELi2EXadL_ZL15dequantize_q5_1PKvliR15HIP_vector_typeIfLj2EEEE6__halfEvS1_PKiPT2_llS2_IjLj3EEmmmmmmmmm.num_vgpr, 17
	.set _ZL10k_get_rowsILi32ELi2EXadL_ZL15dequantize_q5_1PKvliR15HIP_vector_typeIfLj2EEEE6__halfEvS1_PKiPT2_llS2_IjLj3EEmmmmmmmmm.num_agpr, 0
	.set _ZL10k_get_rowsILi32ELi2EXadL_ZL15dequantize_q5_1PKvliR15HIP_vector_typeIfLj2EEEE6__halfEvS1_PKiPT2_llS2_IjLj3EEmmmmmmmmm.numbered_sgpr, 54
	.set _ZL10k_get_rowsILi32ELi2EXadL_ZL15dequantize_q5_1PKvliR15HIP_vector_typeIfLj2EEEE6__halfEvS1_PKiPT2_llS2_IjLj3EEmmmmmmmmm.num_named_barrier, 0
	.set _ZL10k_get_rowsILi32ELi2EXadL_ZL15dequantize_q5_1PKvliR15HIP_vector_typeIfLj2EEEE6__halfEvS1_PKiPT2_llS2_IjLj3EEmmmmmmmmm.private_seg_size, 0
	.set _ZL10k_get_rowsILi32ELi2EXadL_ZL15dequantize_q5_1PKvliR15HIP_vector_typeIfLj2EEEE6__halfEvS1_PKiPT2_llS2_IjLj3EEmmmmmmmmm.uses_vcc, 1
	.set _ZL10k_get_rowsILi32ELi2EXadL_ZL15dequantize_q5_1PKvliR15HIP_vector_typeIfLj2EEEE6__halfEvS1_PKiPT2_llS2_IjLj3EEmmmmmmmmm.uses_flat_scratch, 0
	.set _ZL10k_get_rowsILi32ELi2EXadL_ZL15dequantize_q5_1PKvliR15HIP_vector_typeIfLj2EEEE6__halfEvS1_PKiPT2_llS2_IjLj3EEmmmmmmmmm.has_dyn_sized_stack, 0
	.set _ZL10k_get_rowsILi32ELi2EXadL_ZL15dequantize_q5_1PKvliR15HIP_vector_typeIfLj2EEEE6__halfEvS1_PKiPT2_llS2_IjLj3EEmmmmmmmmm.has_recursion, 0
	.set _ZL10k_get_rowsILi32ELi2EXadL_ZL15dequantize_q5_1PKvliR15HIP_vector_typeIfLj2EEEE6__halfEvS1_PKiPT2_llS2_IjLj3EEmmmmmmmmm.has_indirect_call, 0
	.section	.AMDGPU.csdata,"",@progbits
; Kernel info:
; codeLenInByte = 772
; TotalNumSgprs: 56
; NumVgprs: 17
; ScratchSize: 0
; MemoryBound: 0
; FloatMode: 240
; IeeeMode: 1
; LDSByteSize: 0 bytes/workgroup (compile time only)
; SGPRBlocks: 0
; VGPRBlocks: 1
; NumSGPRsForWavesPerEU: 56
; NumVGPRsForWavesPerEU: 17
; NamedBarCnt: 0
; Occupancy: 16
; WaveLimiterHint : 1
; COMPUTE_PGM_RSRC2:SCRATCH_EN: 0
; COMPUTE_PGM_RSRC2:USER_SGPR: 2
; COMPUTE_PGM_RSRC2:TRAP_HANDLER: 0
; COMPUTE_PGM_RSRC2:TGID_X_EN: 1
; COMPUTE_PGM_RSRC2:TGID_Y_EN: 1
; COMPUTE_PGM_RSRC2:TGID_Z_EN: 1
; COMPUTE_PGM_RSRC2:TIDIG_COMP_CNT: 0
	.section	.text._ZL10k_get_rowsILi32ELi1EXadL_ZL15dequantize_q8_0PKvliR15HIP_vector_typeIfLj2EEEE6__halfEvS1_PKiPT2_llS2_IjLj3EEmmmmmmmmm,"axG",@progbits,_ZL10k_get_rowsILi32ELi1EXadL_ZL15dequantize_q8_0PKvliR15HIP_vector_typeIfLj2EEEE6__halfEvS1_PKiPT2_llS2_IjLj3EEmmmmmmmmm,comdat
	.globl	_ZL10k_get_rowsILi32ELi1EXadL_ZL15dequantize_q8_0PKvliR15HIP_vector_typeIfLj2EEEE6__halfEvS1_PKiPT2_llS2_IjLj3EEmmmmmmmmm ; -- Begin function _ZL10k_get_rowsILi32ELi1EXadL_ZL15dequantize_q8_0PKvliR15HIP_vector_typeIfLj2EEEE6__halfEvS1_PKiPT2_llS2_IjLj3EEmmmmmmmmm
	.p2align	8
	.type	_ZL10k_get_rowsILi32ELi1EXadL_ZL15dequantize_q8_0PKvliR15HIP_vector_typeIfLj2EEEE6__halfEvS1_PKiPT2_llS2_IjLj3EEmmmmmmmmm,@function
_ZL10k_get_rowsILi32ELi1EXadL_ZL15dequantize_q8_0PKvliR15HIP_vector_typeIfLj2EEEE6__halfEvS1_PKiPT2_llS2_IjLj3EEmmmmmmmmm: ; @_ZL10k_get_rowsILi32ELi1EXadL_ZL15dequantize_q8_0PKvliR15HIP_vector_typeIfLj2EEEE6__halfEvS1_PKiPT2_llS2_IjLj3EEmmmmmmmmm
; %bb.0:
	s_clause 0x1
	s_load_b64 s[2:3], s[0:1], 0x2c
	s_load_b128 s[20:23], s[0:1], 0x18
	s_bfe_u32 s4, ttmp6, 0x40014
	s_lshr_b32 s6, ttmp7, 16
	s_add_co_i32 s4, s4, 1
	s_bfe_u32 s5, ttmp6, 0x40008
	s_mul_i32 s4, s6, s4
	s_mov_b32 s29, 0
	s_getreg_b32 s38, hwreg(HW_REG_IB_STS2, 6, 4)
	s_add_co_i32 s7, s5, s4
	s_cmp_eq_u32 s38, 0
	s_mov_b32 s5, s29
	s_cselect_b32 s28, s6, s7
	s_wait_kmcnt 0x0
	s_mov_b32 s4, s3
	s_delay_alu instid0(SALU_CYCLE_1) | instskip(NEXT) | instid1(SALU_CYCLE_1)
	s_mul_u64 s[22:23], s[22:23], s[4:5]
	v_cmp_le_i64_e64 s4, s[22:23], s[28:29]
	s_and_b32 vcc_lo, exec_lo, s4
	s_cbranch_vccnz .LBB29_6
; %bb.1:
	s_clause 0x5
	s_load_b64 s[30:31], s[0:1], 0x88
	s_load_b64 s[34:35], s[0:1], 0x78
	s_load_b128 s[24:27], s[0:1], 0x0
	s_load_b64 s[40:41], s[0:1], 0x10
	s_load_b32 s36, s[0:1], 0x28
	s_load_b512 s[4:19], s[0:1], 0x38
	s_bfe_u32 s39, ttmp6, 0x4000c
	s_bfe_u32 s43, ttmp6, 0x40010
	s_and_b32 s42, ttmp7, 0xffff
	s_add_co_i32 s39, s39, 1
	s_add_co_i32 s43, s43, 1
	s_and_b32 s33, ttmp6, 15
	s_bfe_u32 s44, ttmp6, 0x40004
	s_mul_i32 s39, ttmp9, s39
	s_mul_i32 s43, s42, s43
	s_add_co_i32 s39, s33, s39
	s_add_co_i32 s44, s44, s43
	s_mov_b32 s37, s29
	s_wait_kmcnt 0x0
	s_and_b32 s33, s31, 0xffff
	s_cmp_eq_u32 s38, 0
	s_cselect_b32 s31, s42, s44
	s_cselect_b32 s38, ttmp9, s39
	s_mul_i32 s31, s31, s33
	s_ashr_i32 s39, s38, 31
	v_add_lshl_u32 v0, s31, v0, 1
	v_mov_b32_e32 v1, 0
	s_mul_u64 s[42:43], s[16:17], s[38:39]
	s_add_nc_u64 s[16:17], s[0:1], 0x80
	s_lshl_b64 s[0:1], s[42:43], 2
	s_mul_u64 s[38:39], s[4:5], s[38:39]
	s_add_nc_u64 s[4:5], s[26:27], s[0:1]
	v_mov_b32_e32 v7, v0
	v_mov_b64_e32 v[2:3], v[0:1]
	v_cmp_gt_i64_e64 s0, s[20:21], v[0:1]
	v_lshlrev_b64_e32 v[4:5], 27, v[0:1]
	v_mov_b32_e32 v6, v1
	s_lshl_b64 s[38:39], s[38:39], 1
	s_mov_b64 s[26:27], 0xffffffff
	s_add_nc_u64 s[38:39], s[40:41], s[38:39]
	s_mov_b32 s31, s29
	s_mov_b64 s[40:41], s[28:29]
	s_branch .LBB29_3
.LBB29_2:                               ;   in Loop: Header=BB29_3 Depth=1
	s_or_b32 exec_lo, exec_lo, s1
	s_add_nc_u64 s[40:41], s[40:41], s[30:31]
	s_delay_alu instid0(SALU_CYCLE_1)
	v_cmp_ge_i64_e64 s1, s[40:41], s[22:23]
	s_and_b32 vcc_lo, exec_lo, s1
	s_cbranch_vccnz .LBB29_6
.LBB29_3:                               ; =>This Loop Header: Depth=1
                                        ;     Child Loop BB29_5 Depth 2
	s_and_saveexec_b32 s1, s0
	s_cbranch_execz .LBB29_2
; %bb.4:                                ;   in Loop: Header=BB29_3 Depth=1
	s_and_b64 s[42:43], s[40:41], s[26:27]
	v_mov_b64_e32 v[8:9], v[6:7]
	s_mul_u64 s[42:43], s[42:43], s[36:37]
	v_mov_b64_e32 v[10:11], v[4:5]
	s_add_co_i32 s28, s43, s40
	v_mov_b64_e32 v[12:13], v[2:3]
	s_lshr_b32 s44, s28, s2
	s_delay_alu instid0(SALU_CYCLE_1)
	s_mul_i32 s28, s44, s3
	s_ashr_i32 s45, s44, 31
	s_sub_co_i32 s46, s40, s28
	s_mul_u64 s[42:43], s[18:19], s[44:45]
	s_ashr_i32 s47, s46, 31
	s_lshl_b64 s[42:43], s[42:43], 2
	s_mul_u64 s[48:49], s[34:35], s[46:47]
	s_add_nc_u64 s[42:43], s[4:5], s[42:43]
	s_lshl_b64 s[48:49], s[48:49], 2
	s_mul_u64 s[50:51], s[6:7], s[44:45]
	s_add_nc_u64 s[42:43], s[42:43], s[48:49]
	s_lshl_b64 s[50:51], s[50:51], 1
	s_load_b32 s48, s[42:43], 0x0
	s_load_b32 s28, s[16:17], 0x4
	s_mul_u64 s[52:53], s[12:13], s[44:45]
	s_add_nc_u64 s[44:45], s[38:39], s[50:51]
	s_mul_u64 s[50:51], s[8:9], s[46:47]
	s_mul_u64 s[54:55], s[14:15], s[46:47]
	s_lshl_b64 s[46:47], s[50:51], 1
	s_wait_xcnt 0x0
	s_mov_b32 s42, 0
	s_add_nc_u64 s[44:45], s[44:45], s[46:47]
	s_mov_b32 s50, s42
	s_wait_kmcnt 0x0
	s_ashr_i32 s49, s48, 31
	s_mul_i32 s28, s28, s33
	s_mul_u64 s[46:47], s[10:11], s[48:49]
	s_mov_b32 s43, s28
	s_add_nc_u64 s[48:49], s[24:25], s[46:47]
	s_lshl_b64 s[46:47], s[28:29], 27
	s_add_nc_u64 s[48:49], s[48:49], s[52:53]
	s_delay_alu instid0(SALU_CYCLE_1)
	s_add_nc_u64 s[48:49], s[48:49], s[54:55]
.LBB29_5:                               ;   Parent Loop BB29_3 Depth=1
                                        ; =>  This Inner Loop Header: Depth=2
	s_delay_alu instid0(SALU_CYCLE_1) | instskip(SKIP_3) | instid1(VALU_DEP_2)
	v_mad_nc_i64_i32 v[14:15], v11, 34, s[48:49]
	v_and_b32_e32 v0, 31, v12
	v_add_nc_u64_e32 v[12:13], s[28:29], v[12:13]
	v_add_nc_u64_e32 v[10:11], s[46:47], v[10:11]
	v_cmp_le_i64_e32 vcc_lo, s[20:21], v[12:13]
	s_delay_alu instid0(VALU_DEP_4)
	v_add_nc_u64_e32 v[16:17], v[14:15], v[0:1]
	s_clause 0x1
	global_load_u16 v0, v[14:15], off
	global_load_u16 v18, v[16:17], off offset:2
	s_or_b32 s50, vcc_lo, s50
	s_wait_loadcnt 0x1
	v_cvt_f32_f16_e32 v0, v0
	s_wait_loadcnt 0x0
	s_wait_xcnt 0x1
	v_ashrrev_i16 v14, 8, v18
	v_bfe_i32 v15, v18, 0, 8
	s_delay_alu instid0(VALU_DEP_2) | instskip(SKIP_1) | instid1(VALU_DEP_2)
	v_bfe_i32 v14, v14, 0, 16
	s_wait_xcnt 0x0
	v_bfe_i32 v16, v15, 0, 16
	s_delay_alu instid0(VALU_DEP_2) | instskip(NEXT) | instid1(VALU_DEP_2)
	v_cvt_f32_i32_e32 v15, v14
	v_cvt_f32_i32_e32 v14, v16
	v_ashrrev_i64 v[16:17], 31, v[8:9]
	v_add_nc_u64_e32 v[8:9], s[42:43], v[8:9]
	s_delay_alu instid0(VALU_DEP_3) | instskip(NEXT) | instid1(VALU_DEP_3)
	v_pk_mul_f32 v[14:15], v[0:1], v[14:15] op_sel_hi:[0,1]
	v_add_nc_u64_e32 v[16:17], s[44:45], v[16:17]
	s_delay_alu instid0(VALU_DEP_2)
	v_cvt_pk_f16_f32 v0, v14, v15
	global_store_b32 v[16:17], v0, off
	s_wait_xcnt 0x0
	s_and_not1_b32 exec_lo, exec_lo, s50
	s_cbranch_execnz .LBB29_5
	s_branch .LBB29_2
.LBB29_6:
	s_endpgm
	.section	.rodata,"a",@progbits
	.p2align	6, 0x0
	.amdhsa_kernel _ZL10k_get_rowsILi32ELi1EXadL_ZL15dequantize_q8_0PKvliR15HIP_vector_typeIfLj2EEEE6__halfEvS1_PKiPT2_llS2_IjLj3EEmmmmmmmmm
		.amdhsa_group_segment_fixed_size 0
		.amdhsa_private_segment_fixed_size 0
		.amdhsa_kernarg_size 384
		.amdhsa_user_sgpr_count 2
		.amdhsa_user_sgpr_dispatch_ptr 0
		.amdhsa_user_sgpr_queue_ptr 0
		.amdhsa_user_sgpr_kernarg_segment_ptr 1
		.amdhsa_user_sgpr_dispatch_id 0
		.amdhsa_user_sgpr_kernarg_preload_length 0
		.amdhsa_user_sgpr_kernarg_preload_offset 0
		.amdhsa_user_sgpr_private_segment_size 0
		.amdhsa_wavefront_size32 1
		.amdhsa_uses_dynamic_stack 0
		.amdhsa_enable_private_segment 0
		.amdhsa_system_sgpr_workgroup_id_x 1
		.amdhsa_system_sgpr_workgroup_id_y 1
		.amdhsa_system_sgpr_workgroup_id_z 1
		.amdhsa_system_sgpr_workgroup_info 0
		.amdhsa_system_vgpr_workitem_id 0
		.amdhsa_next_free_vgpr 19
		.amdhsa_next_free_sgpr 56
		.amdhsa_named_barrier_count 0
		.amdhsa_reserve_vcc 1
		.amdhsa_float_round_mode_32 0
		.amdhsa_float_round_mode_16_64 0
		.amdhsa_float_denorm_mode_32 3
		.amdhsa_float_denorm_mode_16_64 3
		.amdhsa_fp16_overflow 0
		.amdhsa_memory_ordered 1
		.amdhsa_forward_progress 1
		.amdhsa_inst_pref_size 6
		.amdhsa_round_robin_scheduling 0
		.amdhsa_exception_fp_ieee_invalid_op 0
		.amdhsa_exception_fp_denorm_src 0
		.amdhsa_exception_fp_ieee_div_zero 0
		.amdhsa_exception_fp_ieee_overflow 0
		.amdhsa_exception_fp_ieee_underflow 0
		.amdhsa_exception_fp_ieee_inexact 0
		.amdhsa_exception_int_div_zero 0
	.end_amdhsa_kernel
	.section	.text._ZL10k_get_rowsILi32ELi1EXadL_ZL15dequantize_q8_0PKvliR15HIP_vector_typeIfLj2EEEE6__halfEvS1_PKiPT2_llS2_IjLj3EEmmmmmmmmm,"axG",@progbits,_ZL10k_get_rowsILi32ELi1EXadL_ZL15dequantize_q8_0PKvliR15HIP_vector_typeIfLj2EEEE6__halfEvS1_PKiPT2_llS2_IjLj3EEmmmmmmmmm,comdat
.Lfunc_end29:
	.size	_ZL10k_get_rowsILi32ELi1EXadL_ZL15dequantize_q8_0PKvliR15HIP_vector_typeIfLj2EEEE6__halfEvS1_PKiPT2_llS2_IjLj3EEmmmmmmmmm, .Lfunc_end29-_ZL10k_get_rowsILi32ELi1EXadL_ZL15dequantize_q8_0PKvliR15HIP_vector_typeIfLj2EEEE6__halfEvS1_PKiPT2_llS2_IjLj3EEmmmmmmmmm
                                        ; -- End function
	.set _ZL10k_get_rowsILi32ELi1EXadL_ZL15dequantize_q8_0PKvliR15HIP_vector_typeIfLj2EEEE6__halfEvS1_PKiPT2_llS2_IjLj3EEmmmmmmmmm.num_vgpr, 19
	.set _ZL10k_get_rowsILi32ELi1EXadL_ZL15dequantize_q8_0PKvliR15HIP_vector_typeIfLj2EEEE6__halfEvS1_PKiPT2_llS2_IjLj3EEmmmmmmmmm.num_agpr, 0
	.set _ZL10k_get_rowsILi32ELi1EXadL_ZL15dequantize_q8_0PKvliR15HIP_vector_typeIfLj2EEEE6__halfEvS1_PKiPT2_llS2_IjLj3EEmmmmmmmmm.numbered_sgpr, 56
	.set _ZL10k_get_rowsILi32ELi1EXadL_ZL15dequantize_q8_0PKvliR15HIP_vector_typeIfLj2EEEE6__halfEvS1_PKiPT2_llS2_IjLj3EEmmmmmmmmm.num_named_barrier, 0
	.set _ZL10k_get_rowsILi32ELi1EXadL_ZL15dequantize_q8_0PKvliR15HIP_vector_typeIfLj2EEEE6__halfEvS1_PKiPT2_llS2_IjLj3EEmmmmmmmmm.private_seg_size, 0
	.set _ZL10k_get_rowsILi32ELi1EXadL_ZL15dequantize_q8_0PKvliR15HIP_vector_typeIfLj2EEEE6__halfEvS1_PKiPT2_llS2_IjLj3EEmmmmmmmmm.uses_vcc, 1
	.set _ZL10k_get_rowsILi32ELi1EXadL_ZL15dequantize_q8_0PKvliR15HIP_vector_typeIfLj2EEEE6__halfEvS1_PKiPT2_llS2_IjLj3EEmmmmmmmmm.uses_flat_scratch, 0
	.set _ZL10k_get_rowsILi32ELi1EXadL_ZL15dequantize_q8_0PKvliR15HIP_vector_typeIfLj2EEEE6__halfEvS1_PKiPT2_llS2_IjLj3EEmmmmmmmmm.has_dyn_sized_stack, 0
	.set _ZL10k_get_rowsILi32ELi1EXadL_ZL15dequantize_q8_0PKvliR15HIP_vector_typeIfLj2EEEE6__halfEvS1_PKiPT2_llS2_IjLj3EEmmmmmmmmm.has_recursion, 0
	.set _ZL10k_get_rowsILi32ELi1EXadL_ZL15dequantize_q8_0PKvliR15HIP_vector_typeIfLj2EEEE6__halfEvS1_PKiPT2_llS2_IjLj3EEmmmmmmmmm.has_indirect_call, 0
	.section	.AMDGPU.csdata,"",@progbits
; Kernel info:
; codeLenInByte = 756
; TotalNumSgprs: 58
; NumVgprs: 19
; ScratchSize: 0
; MemoryBound: 0
; FloatMode: 240
; IeeeMode: 1
; LDSByteSize: 0 bytes/workgroup (compile time only)
; SGPRBlocks: 0
; VGPRBlocks: 1
; NumSGPRsForWavesPerEU: 58
; NumVGPRsForWavesPerEU: 19
; NamedBarCnt: 0
; Occupancy: 16
; WaveLimiterHint : 1
; COMPUTE_PGM_RSRC2:SCRATCH_EN: 0
; COMPUTE_PGM_RSRC2:USER_SGPR: 2
; COMPUTE_PGM_RSRC2:TRAP_HANDLER: 0
; COMPUTE_PGM_RSRC2:TGID_X_EN: 1
; COMPUTE_PGM_RSRC2:TGID_Y_EN: 1
; COMPUTE_PGM_RSRC2:TGID_Z_EN: 1
; COMPUTE_PGM_RSRC2:TIDIG_COMP_CNT: 0
	.section	.text._ZL16k_get_rows_floatI6__half14__hip_bfloat16EvPKT_PKiPT0_ll15HIP_vector_typeIjLj3EEmmmmmmmmm,"axG",@progbits,_ZL16k_get_rows_floatI6__half14__hip_bfloat16EvPKT_PKiPT0_ll15HIP_vector_typeIjLj3EEmmmmmmmmm,comdat
	.globl	_ZL16k_get_rows_floatI6__half14__hip_bfloat16EvPKT_PKiPT0_ll15HIP_vector_typeIjLj3EEmmmmmmmmm ; -- Begin function _ZL16k_get_rows_floatI6__half14__hip_bfloat16EvPKT_PKiPT0_ll15HIP_vector_typeIjLj3EEmmmmmmmmm
	.p2align	8
	.type	_ZL16k_get_rows_floatI6__half14__hip_bfloat16EvPKT_PKiPT0_ll15HIP_vector_typeIjLj3EEmmmmmmmmm,@function
_ZL16k_get_rows_floatI6__half14__hip_bfloat16EvPKT_PKiPT0_ll15HIP_vector_typeIjLj3EEmmmmmmmmm: ; @_ZL16k_get_rows_floatI6__half14__hip_bfloat16EvPKT_PKiPT0_ll15HIP_vector_typeIjLj3EEmmmmmmmmm
; %bb.0:
	s_clause 0x1
	s_load_b64 s[2:3], s[0:1], 0x2c
	s_load_b64 s[4:5], s[0:1], 0x20
	s_bfe_u32 s6, ttmp6, 0x40014
	s_lshr_b32 s8, ttmp7, 16
	s_add_co_i32 s6, s6, 1
	s_bfe_u32 s7, ttmp6, 0x40008
	s_mul_i32 s6, s8, s6
	s_mov_b32 s29, 0
	s_getreg_b32 s36, hwreg(HW_REG_IB_STS2, 6, 4)
	s_add_co_i32 s9, s7, s6
	s_cmp_eq_u32 s36, 0
	s_mov_b32 s7, s29
	s_cselect_b32 s28, s8, s9
	s_wait_kmcnt 0x0
	s_mov_b32 s6, s3
	s_delay_alu instid0(SALU_CYCLE_1) | instskip(NEXT) | instid1(SALU_CYCLE_1)
	s_mul_u64 s[30:31], s[4:5], s[6:7]
	v_cmp_le_i64_e64 s4, s[30:31], s[28:29]
	s_and_b32 vcc_lo, exec_lo, s4
	s_cbranch_vccnz .LBB30_6
; %bb.1:
	s_clause 0x2
	s_load_b64 s[34:35], s[0:1], 0x88
	s_load_b256 s[20:27], s[0:1], 0x0
	s_load_b512 s[4:19], s[0:1], 0x38
	s_bfe_u32 s37, ttmp6, 0x4000c
	s_bfe_u32 s39, ttmp6, 0x40010
	s_and_b32 s38, ttmp7, 0xffff
	s_add_co_i32 s37, s37, 1
	s_add_co_i32 s39, s39, 1
	s_and_b32 s33, ttmp6, 15
	s_bfe_u32 s40, ttmp6, 0x40004
	s_mul_i32 s37, ttmp9, s37
	s_mul_i32 s39, s38, s39
	s_add_co_i32 s41, s33, s37
	s_add_co_i32 s40, s40, s39
	v_mov_b32_e32 v1, 0
	s_mov_b32 s39, s29
	s_wait_kmcnt 0x0
	s_and_b32 s33, s35, 0xffff
	s_cmp_eq_u32 s36, 0
	s_cselect_b32 s35, s38, s40
	s_clause 0x1
	s_load_b64 s[36:37], s[0:1], 0x78
	s_load_b32 s38, s[0:1], 0x28
	v_mad_u32 v0, s35, s33, v0
	s_cselect_b32 s42, ttmp9, s41
	s_add_nc_u64 s[40:41], s[0:1], 0x80
	s_ashr_i32 s43, s42, 31
	s_mov_b32 s35, s29
	s_wait_xcnt 0x0
	s_mul_u64 s[0:1], s[4:5], s[42:43]
	s_mul_u64 s[4:5], s[16:17], s[42:43]
	s_lshl_b64 s[0:1], s[0:1], 1
	s_lshl_b64 s[16:17], s[4:5], 2
	s_add_nc_u64 s[4:5], s[24:25], s[0:1]
	s_add_nc_u64 s[16:17], s[22:23], s[16:17]
	v_lshlrev_b64_e32 v[4:5], 1, v[0:1]
	v_cmp_gt_i64_e64 s0, s[26:27], v[0:1]
	s_lshl_b64 s[6:7], s[6:7], 1
	s_lshl_b64 s[8:9], s[8:9], 1
	v_add_nc_u64_e32 v[2:3], s[4:5], v[4:5]
	v_add_nc_u64_e32 v[4:5], s[20:21], v[4:5]
	s_mov_b64 s[4:5], 0xffffffff
	s_mov_b64 s[20:21], s[28:29]
	s_branch .LBB30_3
.LBB30_2:                               ;   in Loop: Header=BB30_3 Depth=1
	s_or_b32 exec_lo, exec_lo, s1
	s_add_nc_u64 s[20:21], s[20:21], s[34:35]
	s_delay_alu instid0(SALU_CYCLE_1)
	v_cmp_lt_i64_e64 s1, s[20:21], s[30:31]
	s_and_b32 vcc_lo, exec_lo, s1
	s_cbranch_vccz .LBB30_6
.LBB30_3:                               ; =>This Loop Header: Depth=1
                                        ;     Child Loop BB30_5 Depth 2
	s_and_saveexec_b32 s1, s0
	s_cbranch_execz .LBB30_2
; %bb.4:                                ;   in Loop: Header=BB30_3 Depth=1
	s_and_b64 s[22:23], s[20:21], s[4:5]
	s_load_b32 s28, s[40:41], 0x4
	s_wait_kmcnt 0x0
	s_mul_u64 s[22:23], s[22:23], s[38:39]
	v_mov_b64_e32 v[10:11], v[0:1]
	s_add_co_i32 s22, s23, s20
	s_delay_alu instid0(SALU_CYCLE_1) | instskip(NEXT) | instid1(SALU_CYCLE_1)
	s_lshr_b32 s22, s22, s2
	s_mul_i32 s24, s22, s3
	s_ashr_i32 s23, s22, 31
	s_sub_co_i32 s24, s20, s24
	s_mul_u64 s[42:43], s[18:19], s[22:23]
	s_ashr_i32 s25, s24, 31
	s_mul_u64 s[44:45], s[12:13], s[22:23]
	s_mul_u64 s[46:47], s[6:7], s[22:23]
	s_lshl_b64 s[22:23], s[42:43], 2
	s_mul_u64 s[42:43], s[36:37], s[24:25]
	s_add_nc_u64 s[22:23], s[16:17], s[22:23]
	s_mul_u64 s[48:49], s[8:9], s[24:25]
	s_lshl_b64 s[42:43], s[42:43], 2
	s_mul_u64 s[24:25], s[14:15], s[24:25]
	s_add_nc_u64 s[22:23], s[22:23], s[42:43]
	s_add_nc_u64 s[42:43], s[46:47], s[48:49]
	;; [unrolled: 1-line block ×3, first 2 shown]
	v_add_nc_u64_e32 v[6:7], s[42:43], v[2:3]
	v_add_nc_u64_e32 v[8:9], s[24:25], v[4:5]
	s_mul_i32 s28, s28, s33
	s_mov_b64 s[42:43], 0
	s_lshl_b64 s[24:25], s[28:29], 1
	s_mov_b32 s44, 0
.LBB30_5:                               ;   Parent Loop BB30_3 Depth=1
                                        ; =>  This Inner Loop Header: Depth=2
	global_load_b32 v12, v1, s[22:23]
	v_add_nc_u64_e32 v[10:11], s[28:29], v[10:11]
	s_delay_alu instid0(VALU_DEP_1) | instskip(SKIP_3) | instid1(VALU_DEP_1)
	v_cmp_le_i64_e32 vcc_lo, s[26:27], v[10:11]
	s_or_b32 s44, vcc_lo, s44
	s_wait_loadcnt 0x0
	v_ashrrev_i32_e32 v13, 31, v12
	v_mul_u64_e32 v[12:13], s[10:11], v[12:13]
	s_delay_alu instid0(VALU_DEP_1) | instskip(NEXT) | instid1(VALU_DEP_1)
	v_add_nc_u64_e32 v[12:13], s[42:43], v[12:13]
	v_add_nc_u64_e32 v[12:13], v[8:9], v[12:13]
	global_load_u16 v12, v[12:13], off
	s_wait_loadcnt 0x0
	v_cvt_f32_f16_e32 v14, v12
	s_wait_xcnt 0x0
	v_add_nc_u64_e32 v[12:13], s[42:43], v[6:7]
	s_add_nc_u64 s[42:43], s[42:43], s[24:25]
	s_delay_alu instid0(VALU_DEP_2)
	v_cvt_pk_bf16_f32 v14, v14, s0
	global_store_b16 v[12:13], v14, off
	s_wait_xcnt 0x0
	s_and_not1_b32 exec_lo, exec_lo, s44
	s_cbranch_execnz .LBB30_5
	s_branch .LBB30_2
.LBB30_6:
	s_endpgm
	.section	.rodata,"a",@progbits
	.p2align	6, 0x0
	.amdhsa_kernel _ZL16k_get_rows_floatI6__half14__hip_bfloat16EvPKT_PKiPT0_ll15HIP_vector_typeIjLj3EEmmmmmmmmm
		.amdhsa_group_segment_fixed_size 0
		.amdhsa_private_segment_fixed_size 0
		.amdhsa_kernarg_size 384
		.amdhsa_user_sgpr_count 2
		.amdhsa_user_sgpr_dispatch_ptr 0
		.amdhsa_user_sgpr_queue_ptr 0
		.amdhsa_user_sgpr_kernarg_segment_ptr 1
		.amdhsa_user_sgpr_dispatch_id 0
		.amdhsa_user_sgpr_kernarg_preload_length 0
		.amdhsa_user_sgpr_kernarg_preload_offset 0
		.amdhsa_user_sgpr_private_segment_size 0
		.amdhsa_wavefront_size32 1
		.amdhsa_uses_dynamic_stack 0
		.amdhsa_enable_private_segment 0
		.amdhsa_system_sgpr_workgroup_id_x 1
		.amdhsa_system_sgpr_workgroup_id_y 1
		.amdhsa_system_sgpr_workgroup_id_z 1
		.amdhsa_system_sgpr_workgroup_info 0
		.amdhsa_system_vgpr_workitem_id 0
		.amdhsa_next_free_vgpr 15
		.amdhsa_next_free_sgpr 50
		.amdhsa_named_barrier_count 0
		.amdhsa_reserve_vcc 1
		.amdhsa_float_round_mode_32 0
		.amdhsa_float_round_mode_16_64 0
		.amdhsa_float_denorm_mode_32 3
		.amdhsa_float_denorm_mode_16_64 3
		.amdhsa_fp16_overflow 0
		.amdhsa_memory_ordered 1
		.amdhsa_forward_progress 1
		.amdhsa_inst_pref_size 5
		.amdhsa_round_robin_scheduling 0
		.amdhsa_exception_fp_ieee_invalid_op 0
		.amdhsa_exception_fp_denorm_src 0
		.amdhsa_exception_fp_ieee_div_zero 0
		.amdhsa_exception_fp_ieee_overflow 0
		.amdhsa_exception_fp_ieee_underflow 0
		.amdhsa_exception_fp_ieee_inexact 0
		.amdhsa_exception_int_div_zero 0
	.end_amdhsa_kernel
	.section	.text._ZL16k_get_rows_floatI6__half14__hip_bfloat16EvPKT_PKiPT0_ll15HIP_vector_typeIjLj3EEmmmmmmmmm,"axG",@progbits,_ZL16k_get_rows_floatI6__half14__hip_bfloat16EvPKT_PKiPT0_ll15HIP_vector_typeIjLj3EEmmmmmmmmm,comdat
.Lfunc_end30:
	.size	_ZL16k_get_rows_floatI6__half14__hip_bfloat16EvPKT_PKiPT0_ll15HIP_vector_typeIjLj3EEmmmmmmmmm, .Lfunc_end30-_ZL16k_get_rows_floatI6__half14__hip_bfloat16EvPKT_PKiPT0_ll15HIP_vector_typeIjLj3EEmmmmmmmmm
                                        ; -- End function
	.set _ZL16k_get_rows_floatI6__half14__hip_bfloat16EvPKT_PKiPT0_ll15HIP_vector_typeIjLj3EEmmmmmmmmm.num_vgpr, 15
	.set _ZL16k_get_rows_floatI6__half14__hip_bfloat16EvPKT_PKiPT0_ll15HIP_vector_typeIjLj3EEmmmmmmmmm.num_agpr, 0
	.set _ZL16k_get_rows_floatI6__half14__hip_bfloat16EvPKT_PKiPT0_ll15HIP_vector_typeIjLj3EEmmmmmmmmm.numbered_sgpr, 50
	.set _ZL16k_get_rows_floatI6__half14__hip_bfloat16EvPKT_PKiPT0_ll15HIP_vector_typeIjLj3EEmmmmmmmmm.num_named_barrier, 0
	.set _ZL16k_get_rows_floatI6__half14__hip_bfloat16EvPKT_PKiPT0_ll15HIP_vector_typeIjLj3EEmmmmmmmmm.private_seg_size, 0
	.set _ZL16k_get_rows_floatI6__half14__hip_bfloat16EvPKT_PKiPT0_ll15HIP_vector_typeIjLj3EEmmmmmmmmm.uses_vcc, 1
	.set _ZL16k_get_rows_floatI6__half14__hip_bfloat16EvPKT_PKiPT0_ll15HIP_vector_typeIjLj3EEmmmmmmmmm.uses_flat_scratch, 0
	.set _ZL16k_get_rows_floatI6__half14__hip_bfloat16EvPKT_PKiPT0_ll15HIP_vector_typeIjLj3EEmmmmmmmmm.has_dyn_sized_stack, 0
	.set _ZL16k_get_rows_floatI6__half14__hip_bfloat16EvPKT_PKiPT0_ll15HIP_vector_typeIjLj3EEmmmmmmmmm.has_recursion, 0
	.set _ZL16k_get_rows_floatI6__half14__hip_bfloat16EvPKT_PKiPT0_ll15HIP_vector_typeIjLj3EEmmmmmmmmm.has_indirect_call, 0
	.section	.AMDGPU.csdata,"",@progbits
; Kernel info:
; codeLenInByte = 628
; TotalNumSgprs: 52
; NumVgprs: 15
; ScratchSize: 0
; MemoryBound: 0
; FloatMode: 240
; IeeeMode: 1
; LDSByteSize: 0 bytes/workgroup (compile time only)
; SGPRBlocks: 0
; VGPRBlocks: 0
; NumSGPRsForWavesPerEU: 52
; NumVGPRsForWavesPerEU: 15
; NamedBarCnt: 0
; Occupancy: 16
; WaveLimiterHint : 1
; COMPUTE_PGM_RSRC2:SCRATCH_EN: 0
; COMPUTE_PGM_RSRC2:USER_SGPR: 2
; COMPUTE_PGM_RSRC2:TRAP_HANDLER: 0
; COMPUTE_PGM_RSRC2:TGID_X_EN: 1
; COMPUTE_PGM_RSRC2:TGID_Y_EN: 1
; COMPUTE_PGM_RSRC2:TGID_Z_EN: 1
; COMPUTE_PGM_RSRC2:TIDIG_COMP_CNT: 0
	.section	.text._ZL16k_get_rows_floatIf14__hip_bfloat16EvPKT_PKiPT0_ll15HIP_vector_typeIjLj3EEmmmmmmmmm,"axG",@progbits,_ZL16k_get_rows_floatIf14__hip_bfloat16EvPKT_PKiPT0_ll15HIP_vector_typeIjLj3EEmmmmmmmmm,comdat
	.globl	_ZL16k_get_rows_floatIf14__hip_bfloat16EvPKT_PKiPT0_ll15HIP_vector_typeIjLj3EEmmmmmmmmm ; -- Begin function _ZL16k_get_rows_floatIf14__hip_bfloat16EvPKT_PKiPT0_ll15HIP_vector_typeIjLj3EEmmmmmmmmm
	.p2align	8
	.type	_ZL16k_get_rows_floatIf14__hip_bfloat16EvPKT_PKiPT0_ll15HIP_vector_typeIjLj3EEmmmmmmmmm,@function
_ZL16k_get_rows_floatIf14__hip_bfloat16EvPKT_PKiPT0_ll15HIP_vector_typeIjLj3EEmmmmmmmmm: ; @_ZL16k_get_rows_floatIf14__hip_bfloat16EvPKT_PKiPT0_ll15HIP_vector_typeIjLj3EEmmmmmmmmm
; %bb.0:
	s_clause 0x1
	s_load_b64 s[2:3], s[0:1], 0x2c
	s_load_b64 s[4:5], s[0:1], 0x20
	s_bfe_u32 s6, ttmp6, 0x40014
	s_lshr_b32 s8, ttmp7, 16
	s_add_co_i32 s6, s6, 1
	s_bfe_u32 s7, ttmp6, 0x40008
	s_mul_i32 s6, s8, s6
	s_mov_b32 s29, 0
	s_getreg_b32 s39, hwreg(HW_REG_IB_STS2, 6, 4)
	s_add_co_i32 s9, s7, s6
	s_cmp_eq_u32 s39, 0
	s_mov_b32 s7, s29
	s_cselect_b32 s28, s8, s9
	s_wait_kmcnt 0x0
	s_mov_b32 s6, s3
	s_delay_alu instid0(SALU_CYCLE_1) | instskip(NEXT) | instid1(SALU_CYCLE_1)
	s_mul_u64 s[30:31], s[4:5], s[6:7]
	v_cmp_le_i64_e64 s4, s[30:31], s[28:29]
	s_and_b32 vcc_lo, exec_lo, s4
	s_cbranch_vccnz .LBB31_6
; %bb.1:
	s_clause 0x4
	s_load_b64 s[34:35], s[0:1], 0x88
	s_load_b64 s[36:37], s[0:1], 0x78
	s_load_b256 s[20:27], s[0:1], 0x0
	s_load_b32 s38, s[0:1], 0x28
	s_load_b512 s[4:19], s[0:1], 0x38
	s_bfe_u32 s40, ttmp6, 0x4000c
	s_bfe_u32 s42, ttmp6, 0x40010
	s_and_b32 s41, ttmp7, 0xffff
	s_add_co_i32 s40, s40, 1
	s_add_co_i32 s42, s42, 1
	s_and_b32 s33, ttmp6, 15
	s_bfe_u32 s43, ttmp6, 0x40004
	s_mul_i32 s40, ttmp9, s40
	s_mul_i32 s42, s41, s42
	s_add_co_i32 s44, s33, s40
	s_add_co_i32 s43, s43, s42
	v_mov_b32_e32 v1, 0
	s_wait_kmcnt 0x0
	s_and_b32 s33, s35, 0xffff
	s_cmp_eq_u32 s39, 0
	s_mov_b32 s39, s29
	s_cselect_b32 s35, s41, s43
	s_add_nc_u64 s[40:41], s[0:1], 0x80
	v_mad_u32 v0, s35, s33, v0
	s_cselect_b32 s0, ttmp9, s44
	s_mov_b32 s35, s29
	s_ashr_i32 s1, s0, 31
	s_lshl_b64 s[6:7], s[6:7], 1
	s_mul_u64 s[16:17], s[16:17], s[0:1]
	s_mul_u64 s[0:1], s[4:5], s[0:1]
	s_lshl_b64 s[4:5], s[16:17], 2
	s_lshl_b64 s[0:1], s[0:1], 1
	s_add_nc_u64 s[4:5], s[22:23], s[4:5]
	s_add_nc_u64 s[22:23], s[24:25], s[0:1]
	v_cmp_gt_i64_e64 s0, s[26:27], v[0:1]
	v_lshl_add_u64 v[2:3], v[0:1], 1, s[22:23]
	v_lshl_add_u64 v[4:5], v[0:1], 2, s[20:21]
	s_mov_b64 s[16:17], 0xffffffff
	s_lshl_b64 s[8:9], s[8:9], 1
	s_mov_b64 s[20:21], s[28:29]
	s_branch .LBB31_3
.LBB31_2:                               ;   in Loop: Header=BB31_3 Depth=1
	s_or_b32 exec_lo, exec_lo, s1
	s_add_nc_u64 s[20:21], s[20:21], s[34:35]
	s_delay_alu instid0(SALU_CYCLE_1)
	v_cmp_lt_i64_e64 s1, s[20:21], s[30:31]
	s_and_b32 vcc_lo, exec_lo, s1
	s_cbranch_vccz .LBB31_6
.LBB31_3:                               ; =>This Loop Header: Depth=1
                                        ;     Child Loop BB31_5 Depth 2
	s_and_saveexec_b32 s1, s0
	s_cbranch_execz .LBB31_2
; %bb.4:                                ;   in Loop: Header=BB31_3 Depth=1
	s_and_b64 s[22:23], s[20:21], s[16:17]
	s_load_b32 s28, s[40:41], 0x4
	s_mul_u64 s[22:23], s[22:23], s[38:39]
	v_mov_b64_e32 v[10:11], v[0:1]
	s_add_co_i32 s22, s23, s20
	s_delay_alu instid0(SALU_CYCLE_1) | instskip(NEXT) | instid1(SALU_CYCLE_1)
	s_lshr_b32 s22, s22, s2
	s_mul_i32 s24, s22, s3
	s_ashr_i32 s23, s22, 31
	s_sub_co_i32 s24, s20, s24
	s_mul_u64 s[42:43], s[18:19], s[22:23]
	s_ashr_i32 s25, s24, 31
	s_mul_u64 s[44:45], s[12:13], s[22:23]
	s_mul_u64 s[46:47], s[6:7], s[22:23]
	s_lshl_b64 s[22:23], s[42:43], 2
	s_mul_u64 s[42:43], s[36:37], s[24:25]
	s_add_nc_u64 s[22:23], s[4:5], s[22:23]
	s_mul_u64 s[48:49], s[8:9], s[24:25]
	s_lshl_b64 s[42:43], s[42:43], 2
	s_mul_u64 s[24:25], s[14:15], s[24:25]
	s_add_nc_u64 s[22:23], s[22:23], s[42:43]
	s_add_nc_u64 s[42:43], s[46:47], s[48:49]
	;; [unrolled: 1-line block ×3, first 2 shown]
	v_add_nc_u64_e32 v[6:7], s[42:43], v[2:3]
	v_add_nc_u64_e32 v[8:9], s[24:25], v[4:5]
	s_wait_kmcnt 0x0
	s_mul_i32 s28, s28, s33
	s_mov_b32 s44, 0
	s_lshl_b64 s[24:25], s[28:29], 1
	s_lshl_b64 s[42:43], s[28:29], 2
.LBB31_5:                               ;   Parent Loop BB31_3 Depth=1
                                        ; =>  This Inner Loop Header: Depth=2
	global_load_b32 v12, v1, s[22:23]
	v_add_nc_u64_e32 v[10:11], s[28:29], v[10:11]
	s_delay_alu instid0(VALU_DEP_1)
	v_cmp_le_i64_e32 vcc_lo, s[26:27], v[10:11]
	s_or_b32 s44, vcc_lo, s44
	s_wait_loadcnt 0x0
	v_ashrrev_i32_e32 v14, 31, v12
	v_mul_lo_u32 v15, s11, v12
	v_mad_nc_u64_u32 v[12:13], s10, v12, v[8:9]
	v_add_nc_u64_e32 v[8:9], s[42:43], v[8:9]
	s_delay_alu instid0(VALU_DEP_4) | instskip(NEXT) | instid1(VALU_DEP_1)
	v_mul_lo_u32 v14, s10, v14
	v_add3_u32 v13, v14, v15, v13
	global_load_b32 v12, v[12:13], off
	s_wait_loadcnt 0x0
	s_wait_xcnt 0x0
	v_cvt_pk_bf16_f32 v12, v12, s0
	global_store_b16 v[6:7], v12, off
	s_wait_xcnt 0x0
	v_add_nc_u64_e32 v[6:7], s[24:25], v[6:7]
	s_and_not1_b32 exec_lo, exec_lo, s44
	s_cbranch_execnz .LBB31_5
	s_branch .LBB31_2
.LBB31_6:
	s_endpgm
	.section	.rodata,"a",@progbits
	.p2align	6, 0x0
	.amdhsa_kernel _ZL16k_get_rows_floatIf14__hip_bfloat16EvPKT_PKiPT0_ll15HIP_vector_typeIjLj3EEmmmmmmmmm
		.amdhsa_group_segment_fixed_size 0
		.amdhsa_private_segment_fixed_size 0
		.amdhsa_kernarg_size 384
		.amdhsa_user_sgpr_count 2
		.amdhsa_user_sgpr_dispatch_ptr 0
		.amdhsa_user_sgpr_queue_ptr 0
		.amdhsa_user_sgpr_kernarg_segment_ptr 1
		.amdhsa_user_sgpr_dispatch_id 0
		.amdhsa_user_sgpr_kernarg_preload_length 0
		.amdhsa_user_sgpr_kernarg_preload_offset 0
		.amdhsa_user_sgpr_private_segment_size 0
		.amdhsa_wavefront_size32 1
		.amdhsa_uses_dynamic_stack 0
		.amdhsa_enable_private_segment 0
		.amdhsa_system_sgpr_workgroup_id_x 1
		.amdhsa_system_sgpr_workgroup_id_y 1
		.amdhsa_system_sgpr_workgroup_id_z 1
		.amdhsa_system_sgpr_workgroup_info 0
		.amdhsa_system_vgpr_workitem_id 0
		.amdhsa_next_free_vgpr 16
		.amdhsa_next_free_sgpr 50
		.amdhsa_named_barrier_count 0
		.amdhsa_reserve_vcc 1
		.amdhsa_float_round_mode_32 0
		.amdhsa_float_round_mode_16_64 0
		.amdhsa_float_denorm_mode_32 3
		.amdhsa_float_denorm_mode_16_64 3
		.amdhsa_fp16_overflow 0
		.amdhsa_memory_ordered 1
		.amdhsa_forward_progress 1
		.amdhsa_inst_pref_size 5
		.amdhsa_round_robin_scheduling 0
		.amdhsa_exception_fp_ieee_invalid_op 0
		.amdhsa_exception_fp_denorm_src 0
		.amdhsa_exception_fp_ieee_div_zero 0
		.amdhsa_exception_fp_ieee_overflow 0
		.amdhsa_exception_fp_ieee_underflow 0
		.amdhsa_exception_fp_ieee_inexact 0
		.amdhsa_exception_int_div_zero 0
	.end_amdhsa_kernel
	.section	.text._ZL16k_get_rows_floatIf14__hip_bfloat16EvPKT_PKiPT0_ll15HIP_vector_typeIjLj3EEmmmmmmmmm,"axG",@progbits,_ZL16k_get_rows_floatIf14__hip_bfloat16EvPKT_PKiPT0_ll15HIP_vector_typeIjLj3EEmmmmmmmmm,comdat
.Lfunc_end31:
	.size	_ZL16k_get_rows_floatIf14__hip_bfloat16EvPKT_PKiPT0_ll15HIP_vector_typeIjLj3EEmmmmmmmmm, .Lfunc_end31-_ZL16k_get_rows_floatIf14__hip_bfloat16EvPKT_PKiPT0_ll15HIP_vector_typeIjLj3EEmmmmmmmmm
                                        ; -- End function
	.set _ZL16k_get_rows_floatIf14__hip_bfloat16EvPKT_PKiPT0_ll15HIP_vector_typeIjLj3EEmmmmmmmmm.num_vgpr, 16
	.set _ZL16k_get_rows_floatIf14__hip_bfloat16EvPKT_PKiPT0_ll15HIP_vector_typeIjLj3EEmmmmmmmmm.num_agpr, 0
	.set _ZL16k_get_rows_floatIf14__hip_bfloat16EvPKT_PKiPT0_ll15HIP_vector_typeIjLj3EEmmmmmmmmm.numbered_sgpr, 50
	.set _ZL16k_get_rows_floatIf14__hip_bfloat16EvPKT_PKiPT0_ll15HIP_vector_typeIjLj3EEmmmmmmmmm.num_named_barrier, 0
	.set _ZL16k_get_rows_floatIf14__hip_bfloat16EvPKT_PKiPT0_ll15HIP_vector_typeIjLj3EEmmmmmmmmm.private_seg_size, 0
	.set _ZL16k_get_rows_floatIf14__hip_bfloat16EvPKT_PKiPT0_ll15HIP_vector_typeIjLj3EEmmmmmmmmm.uses_vcc, 1
	.set _ZL16k_get_rows_floatIf14__hip_bfloat16EvPKT_PKiPT0_ll15HIP_vector_typeIjLj3EEmmmmmmmmm.uses_flat_scratch, 0
	.set _ZL16k_get_rows_floatIf14__hip_bfloat16EvPKT_PKiPT0_ll15HIP_vector_typeIjLj3EEmmmmmmmmm.has_dyn_sized_stack, 0
	.set _ZL16k_get_rows_floatIf14__hip_bfloat16EvPKT_PKiPT0_ll15HIP_vector_typeIjLj3EEmmmmmmmmm.has_recursion, 0
	.set _ZL16k_get_rows_floatIf14__hip_bfloat16EvPKT_PKiPT0_ll15HIP_vector_typeIjLj3EEmmmmmmmmm.has_indirect_call, 0
	.section	.AMDGPU.csdata,"",@progbits
; Kernel info:
; codeLenInByte = 636
; TotalNumSgprs: 52
; NumVgprs: 16
; ScratchSize: 0
; MemoryBound: 0
; FloatMode: 240
; IeeeMode: 1
; LDSByteSize: 0 bytes/workgroup (compile time only)
; SGPRBlocks: 0
; VGPRBlocks: 0
; NumSGPRsForWavesPerEU: 52
; NumVGPRsForWavesPerEU: 16
; NamedBarCnt: 0
; Occupancy: 16
; WaveLimiterHint : 1
; COMPUTE_PGM_RSRC2:SCRATCH_EN: 0
; COMPUTE_PGM_RSRC2:USER_SGPR: 2
; COMPUTE_PGM_RSRC2:TRAP_HANDLER: 0
; COMPUTE_PGM_RSRC2:TGID_X_EN: 1
; COMPUTE_PGM_RSRC2:TGID_Y_EN: 1
; COMPUTE_PGM_RSRC2:TGID_Z_EN: 1
; COMPUTE_PGM_RSRC2:TIDIG_COMP_CNT: 0
	.section	.text._ZL16k_get_rows_floatIi14__hip_bfloat16EvPKT_PKiPT0_ll15HIP_vector_typeIjLj3EEmmmmmmmmm,"axG",@progbits,_ZL16k_get_rows_floatIi14__hip_bfloat16EvPKT_PKiPT0_ll15HIP_vector_typeIjLj3EEmmmmmmmmm,comdat
	.globl	_ZL16k_get_rows_floatIi14__hip_bfloat16EvPKT_PKiPT0_ll15HIP_vector_typeIjLj3EEmmmmmmmmm ; -- Begin function _ZL16k_get_rows_floatIi14__hip_bfloat16EvPKT_PKiPT0_ll15HIP_vector_typeIjLj3EEmmmmmmmmm
	.p2align	8
	.type	_ZL16k_get_rows_floatIi14__hip_bfloat16EvPKT_PKiPT0_ll15HIP_vector_typeIjLj3EEmmmmmmmmm,@function
_ZL16k_get_rows_floatIi14__hip_bfloat16EvPKT_PKiPT0_ll15HIP_vector_typeIjLj3EEmmmmmmmmm: ; @_ZL16k_get_rows_floatIi14__hip_bfloat16EvPKT_PKiPT0_ll15HIP_vector_typeIjLj3EEmmmmmmmmm
; %bb.0:
	s_clause 0x1
	s_load_b64 s[2:3], s[0:1], 0x2c
	s_load_b64 s[4:5], s[0:1], 0x20
	s_bfe_u32 s6, ttmp6, 0x40014
	s_lshr_b32 s8, ttmp7, 16
	s_add_co_i32 s6, s6, 1
	s_bfe_u32 s7, ttmp6, 0x40008
	s_mul_i32 s6, s8, s6
	s_mov_b32 s29, 0
	s_getreg_b32 s39, hwreg(HW_REG_IB_STS2, 6, 4)
	s_add_co_i32 s9, s7, s6
	s_cmp_eq_u32 s39, 0
	s_mov_b32 s7, s29
	s_cselect_b32 s28, s8, s9
	s_wait_kmcnt 0x0
	s_mov_b32 s6, s3
	s_delay_alu instid0(SALU_CYCLE_1) | instskip(NEXT) | instid1(SALU_CYCLE_1)
	s_mul_u64 s[30:31], s[4:5], s[6:7]
	v_cmp_le_i64_e64 s4, s[30:31], s[28:29]
	s_and_b32 vcc_lo, exec_lo, s4
	s_cbranch_vccnz .LBB32_6
; %bb.1:
	s_clause 0x4
	s_load_b64 s[34:35], s[0:1], 0x88
	s_load_b64 s[36:37], s[0:1], 0x78
	s_load_b256 s[20:27], s[0:1], 0x0
	s_load_b32 s38, s[0:1], 0x28
	s_load_b512 s[4:19], s[0:1], 0x38
	s_bfe_u32 s40, ttmp6, 0x4000c
	s_bfe_u32 s42, ttmp6, 0x40010
	s_and_b32 s41, ttmp7, 0xffff
	s_add_co_i32 s40, s40, 1
	s_add_co_i32 s42, s42, 1
	s_and_b32 s33, ttmp6, 15
	s_bfe_u32 s43, ttmp6, 0x40004
	s_mul_i32 s40, ttmp9, s40
	s_mul_i32 s42, s41, s42
	s_add_co_i32 s44, s33, s40
	s_add_co_i32 s43, s43, s42
	v_mov_b32_e32 v1, 0
	s_wait_kmcnt 0x0
	s_and_b32 s33, s35, 0xffff
	s_cmp_eq_u32 s39, 0
	s_mov_b32 s39, s29
	s_cselect_b32 s35, s41, s43
	s_add_nc_u64 s[40:41], s[0:1], 0x80
	v_mad_u32 v0, s35, s33, v0
	s_cselect_b32 s0, ttmp9, s44
	s_mov_b32 s35, s29
	s_ashr_i32 s1, s0, 31
	s_lshl_b64 s[6:7], s[6:7], 1
	s_mul_u64 s[16:17], s[16:17], s[0:1]
	s_mul_u64 s[0:1], s[4:5], s[0:1]
	s_lshl_b64 s[4:5], s[16:17], 2
	s_lshl_b64 s[0:1], s[0:1], 1
	s_add_nc_u64 s[4:5], s[22:23], s[4:5]
	s_add_nc_u64 s[22:23], s[24:25], s[0:1]
	v_cmp_gt_i64_e64 s0, s[26:27], v[0:1]
	v_lshl_add_u64 v[2:3], v[0:1], 1, s[22:23]
	v_lshl_add_u64 v[4:5], v[0:1], 2, s[20:21]
	s_mov_b64 s[16:17], 0xffffffff
	s_lshl_b64 s[8:9], s[8:9], 1
	s_mov_b64 s[20:21], s[28:29]
	s_branch .LBB32_3
.LBB32_2:                               ;   in Loop: Header=BB32_3 Depth=1
	s_or_b32 exec_lo, exec_lo, s1
	s_add_nc_u64 s[20:21], s[20:21], s[34:35]
	s_delay_alu instid0(SALU_CYCLE_1)
	v_cmp_lt_i64_e64 s1, s[20:21], s[30:31]
	s_and_b32 vcc_lo, exec_lo, s1
	s_cbranch_vccz .LBB32_6
.LBB32_3:                               ; =>This Loop Header: Depth=1
                                        ;     Child Loop BB32_5 Depth 2
	s_and_saveexec_b32 s1, s0
	s_cbranch_execz .LBB32_2
; %bb.4:                                ;   in Loop: Header=BB32_3 Depth=1
	s_and_b64 s[22:23], s[20:21], s[16:17]
	s_load_b32 s28, s[40:41], 0x4
	s_mul_u64 s[22:23], s[22:23], s[38:39]
	v_mov_b64_e32 v[10:11], v[0:1]
	s_add_co_i32 s22, s23, s20
	s_delay_alu instid0(SALU_CYCLE_1) | instskip(NEXT) | instid1(SALU_CYCLE_1)
	s_lshr_b32 s22, s22, s2
	s_mul_i32 s24, s22, s3
	s_ashr_i32 s23, s22, 31
	s_sub_co_i32 s24, s20, s24
	s_mul_u64 s[42:43], s[18:19], s[22:23]
	s_ashr_i32 s25, s24, 31
	s_mul_u64 s[44:45], s[12:13], s[22:23]
	s_mul_u64 s[46:47], s[6:7], s[22:23]
	s_lshl_b64 s[22:23], s[42:43], 2
	s_mul_u64 s[42:43], s[36:37], s[24:25]
	s_add_nc_u64 s[22:23], s[4:5], s[22:23]
	s_mul_u64 s[48:49], s[8:9], s[24:25]
	s_lshl_b64 s[42:43], s[42:43], 2
	s_mul_u64 s[24:25], s[14:15], s[24:25]
	s_add_nc_u64 s[22:23], s[22:23], s[42:43]
	s_add_nc_u64 s[42:43], s[46:47], s[48:49]
	;; [unrolled: 1-line block ×3, first 2 shown]
	v_add_nc_u64_e32 v[6:7], s[42:43], v[2:3]
	v_add_nc_u64_e32 v[8:9], s[24:25], v[4:5]
	s_wait_kmcnt 0x0
	s_mul_i32 s28, s28, s33
	s_mov_b32 s44, 0
	s_lshl_b64 s[24:25], s[28:29], 1
	s_lshl_b64 s[42:43], s[28:29], 2
.LBB32_5:                               ;   Parent Loop BB32_3 Depth=1
                                        ; =>  This Inner Loop Header: Depth=2
	global_load_b32 v12, v1, s[22:23]
	v_add_nc_u64_e32 v[10:11], s[28:29], v[10:11]
	s_delay_alu instid0(VALU_DEP_1)
	v_cmp_le_i64_e32 vcc_lo, s[26:27], v[10:11]
	s_or_b32 s44, vcc_lo, s44
	s_wait_loadcnt 0x0
	v_ashrrev_i32_e32 v14, 31, v12
	v_mul_lo_u32 v15, s11, v12
	v_mad_nc_u64_u32 v[12:13], s10, v12, v[8:9]
	v_add_nc_u64_e32 v[8:9], s[42:43], v[8:9]
	s_delay_alu instid0(VALU_DEP_4) | instskip(NEXT) | instid1(VALU_DEP_1)
	v_mul_lo_u32 v14, s10, v14
	v_add3_u32 v13, v14, v15, v13
	global_load_b32 v12, v[12:13], off
	s_wait_loadcnt 0x0
	s_wait_xcnt 0x0
	v_cvt_f32_i32_e32 v12, v12
	s_delay_alu instid0(VALU_DEP_1)
	v_cvt_pk_bf16_f32 v12, v12, s0
	global_store_b16 v[6:7], v12, off
	s_wait_xcnt 0x0
	v_add_nc_u64_e32 v[6:7], s[24:25], v[6:7]
	s_and_not1_b32 exec_lo, exec_lo, s44
	s_cbranch_execnz .LBB32_5
	s_branch .LBB32_2
.LBB32_6:
	s_endpgm
	.section	.rodata,"a",@progbits
	.p2align	6, 0x0
	.amdhsa_kernel _ZL16k_get_rows_floatIi14__hip_bfloat16EvPKT_PKiPT0_ll15HIP_vector_typeIjLj3EEmmmmmmmmm
		.amdhsa_group_segment_fixed_size 0
		.amdhsa_private_segment_fixed_size 0
		.amdhsa_kernarg_size 384
		.amdhsa_user_sgpr_count 2
		.amdhsa_user_sgpr_dispatch_ptr 0
		.amdhsa_user_sgpr_queue_ptr 0
		.amdhsa_user_sgpr_kernarg_segment_ptr 1
		.amdhsa_user_sgpr_dispatch_id 0
		.amdhsa_user_sgpr_kernarg_preload_length 0
		.amdhsa_user_sgpr_kernarg_preload_offset 0
		.amdhsa_user_sgpr_private_segment_size 0
		.amdhsa_wavefront_size32 1
		.amdhsa_uses_dynamic_stack 0
		.amdhsa_enable_private_segment 0
		.amdhsa_system_sgpr_workgroup_id_x 1
		.amdhsa_system_sgpr_workgroup_id_y 1
		.amdhsa_system_sgpr_workgroup_id_z 1
		.amdhsa_system_sgpr_workgroup_info 0
		.amdhsa_system_vgpr_workitem_id 0
		.amdhsa_next_free_vgpr 16
		.amdhsa_next_free_sgpr 50
		.amdhsa_named_barrier_count 0
		.amdhsa_reserve_vcc 1
		.amdhsa_float_round_mode_32 0
		.amdhsa_float_round_mode_16_64 0
		.amdhsa_float_denorm_mode_32 3
		.amdhsa_float_denorm_mode_16_64 3
		.amdhsa_fp16_overflow 0
		.amdhsa_memory_ordered 1
		.amdhsa_forward_progress 1
		.amdhsa_inst_pref_size 6
		.amdhsa_round_robin_scheduling 0
		.amdhsa_exception_fp_ieee_invalid_op 0
		.amdhsa_exception_fp_denorm_src 0
		.amdhsa_exception_fp_ieee_div_zero 0
		.amdhsa_exception_fp_ieee_overflow 0
		.amdhsa_exception_fp_ieee_underflow 0
		.amdhsa_exception_fp_ieee_inexact 0
		.amdhsa_exception_int_div_zero 0
	.end_amdhsa_kernel
	.section	.text._ZL16k_get_rows_floatIi14__hip_bfloat16EvPKT_PKiPT0_ll15HIP_vector_typeIjLj3EEmmmmmmmmm,"axG",@progbits,_ZL16k_get_rows_floatIi14__hip_bfloat16EvPKT_PKiPT0_ll15HIP_vector_typeIjLj3EEmmmmmmmmm,comdat
.Lfunc_end32:
	.size	_ZL16k_get_rows_floatIi14__hip_bfloat16EvPKT_PKiPT0_ll15HIP_vector_typeIjLj3EEmmmmmmmmm, .Lfunc_end32-_ZL16k_get_rows_floatIi14__hip_bfloat16EvPKT_PKiPT0_ll15HIP_vector_typeIjLj3EEmmmmmmmmm
                                        ; -- End function
	.set _ZL16k_get_rows_floatIi14__hip_bfloat16EvPKT_PKiPT0_ll15HIP_vector_typeIjLj3EEmmmmmmmmm.num_vgpr, 16
	.set _ZL16k_get_rows_floatIi14__hip_bfloat16EvPKT_PKiPT0_ll15HIP_vector_typeIjLj3EEmmmmmmmmm.num_agpr, 0
	.set _ZL16k_get_rows_floatIi14__hip_bfloat16EvPKT_PKiPT0_ll15HIP_vector_typeIjLj3EEmmmmmmmmm.numbered_sgpr, 50
	.set _ZL16k_get_rows_floatIi14__hip_bfloat16EvPKT_PKiPT0_ll15HIP_vector_typeIjLj3EEmmmmmmmmm.num_named_barrier, 0
	.set _ZL16k_get_rows_floatIi14__hip_bfloat16EvPKT_PKiPT0_ll15HIP_vector_typeIjLj3EEmmmmmmmmm.private_seg_size, 0
	.set _ZL16k_get_rows_floatIi14__hip_bfloat16EvPKT_PKiPT0_ll15HIP_vector_typeIjLj3EEmmmmmmmmm.uses_vcc, 1
	.set _ZL16k_get_rows_floatIi14__hip_bfloat16EvPKT_PKiPT0_ll15HIP_vector_typeIjLj3EEmmmmmmmmm.uses_flat_scratch, 0
	.set _ZL16k_get_rows_floatIi14__hip_bfloat16EvPKT_PKiPT0_ll15HIP_vector_typeIjLj3EEmmmmmmmmm.has_dyn_sized_stack, 0
	.set _ZL16k_get_rows_floatIi14__hip_bfloat16EvPKT_PKiPT0_ll15HIP_vector_typeIjLj3EEmmmmmmmmm.has_recursion, 0
	.set _ZL16k_get_rows_floatIi14__hip_bfloat16EvPKT_PKiPT0_ll15HIP_vector_typeIjLj3EEmmmmmmmmm.has_indirect_call, 0
	.section	.AMDGPU.csdata,"",@progbits
; Kernel info:
; codeLenInByte = 644
; TotalNumSgprs: 52
; NumVgprs: 16
; ScratchSize: 0
; MemoryBound: 0
; FloatMode: 240
; IeeeMode: 1
; LDSByteSize: 0 bytes/workgroup (compile time only)
; SGPRBlocks: 0
; VGPRBlocks: 0
; NumSGPRsForWavesPerEU: 52
; NumVGPRsForWavesPerEU: 16
; NamedBarCnt: 0
; Occupancy: 16
; WaveLimiterHint : 1
; COMPUTE_PGM_RSRC2:SCRATCH_EN: 0
; COMPUTE_PGM_RSRC2:USER_SGPR: 2
; COMPUTE_PGM_RSRC2:TRAP_HANDLER: 0
; COMPUTE_PGM_RSRC2:TGID_X_EN: 1
; COMPUTE_PGM_RSRC2:TGID_Y_EN: 1
; COMPUTE_PGM_RSRC2:TGID_Z_EN: 1
; COMPUTE_PGM_RSRC2:TIDIG_COMP_CNT: 0
	.section	.text._ZL16k_get_rows_floatI14__hip_bfloat16S0_EvPKT_PKiPT0_ll15HIP_vector_typeIjLj3EEmmmmmmmmm,"axG",@progbits,_ZL16k_get_rows_floatI14__hip_bfloat16S0_EvPKT_PKiPT0_ll15HIP_vector_typeIjLj3EEmmmmmmmmm,comdat
	.globl	_ZL16k_get_rows_floatI14__hip_bfloat16S0_EvPKT_PKiPT0_ll15HIP_vector_typeIjLj3EEmmmmmmmmm ; -- Begin function _ZL16k_get_rows_floatI14__hip_bfloat16S0_EvPKT_PKiPT0_ll15HIP_vector_typeIjLj3EEmmmmmmmmm
	.p2align	8
	.type	_ZL16k_get_rows_floatI14__hip_bfloat16S0_EvPKT_PKiPT0_ll15HIP_vector_typeIjLj3EEmmmmmmmmm,@function
_ZL16k_get_rows_floatI14__hip_bfloat16S0_EvPKT_PKiPT0_ll15HIP_vector_typeIjLj3EEmmmmmmmmm: ; @_ZL16k_get_rows_floatI14__hip_bfloat16S0_EvPKT_PKiPT0_ll15HIP_vector_typeIjLj3EEmmmmmmmmm
; %bb.0:
	s_clause 0x1
	s_load_b64 s[2:3], s[0:1], 0x2c
	s_load_b64 s[4:5], s[0:1], 0x20
	s_bfe_u32 s6, ttmp6, 0x40014
	s_lshr_b32 s8, ttmp7, 16
	s_add_co_i32 s6, s6, 1
	s_bfe_u32 s7, ttmp6, 0x40008
	s_mul_i32 s6, s8, s6
	s_mov_b32 s29, 0
	s_getreg_b32 s36, hwreg(HW_REG_IB_STS2, 6, 4)
	s_add_co_i32 s9, s7, s6
	s_cmp_eq_u32 s36, 0
	s_mov_b32 s7, s29
	s_cselect_b32 s28, s8, s9
	s_wait_kmcnt 0x0
	s_mov_b32 s6, s3
	s_delay_alu instid0(SALU_CYCLE_1) | instskip(NEXT) | instid1(SALU_CYCLE_1)
	s_mul_u64 s[30:31], s[4:5], s[6:7]
	v_cmp_le_i64_e64 s4, s[30:31], s[28:29]
	s_and_b32 vcc_lo, exec_lo, s4
	s_cbranch_vccnz .LBB33_6
; %bb.1:
	s_clause 0x2
	s_load_b64 s[34:35], s[0:1], 0x88
	s_load_b256 s[20:27], s[0:1], 0x0
	s_load_b512 s[4:19], s[0:1], 0x38
	s_bfe_u32 s37, ttmp6, 0x4000c
	s_bfe_u32 s39, ttmp6, 0x40010
	s_and_b32 s38, ttmp7, 0xffff
	s_add_co_i32 s37, s37, 1
	s_add_co_i32 s39, s39, 1
	s_and_b32 s33, ttmp6, 15
	s_bfe_u32 s40, ttmp6, 0x40004
	s_mul_i32 s37, ttmp9, s37
	s_mul_i32 s39, s38, s39
	s_add_co_i32 s41, s33, s37
	s_add_co_i32 s40, s40, s39
	v_mov_b32_e32 v1, 0
	s_mov_b32 s39, s29
	s_wait_kmcnt 0x0
	s_and_b32 s33, s35, 0xffff
	s_cmp_eq_u32 s36, 0
	s_cselect_b32 s35, s38, s40
	s_clause 0x1
	s_load_b64 s[36:37], s[0:1], 0x78
	s_load_b32 s38, s[0:1], 0x28
	v_mad_u32 v0, s35, s33, v0
	s_cselect_b32 s42, ttmp9, s41
	s_add_nc_u64 s[40:41], s[0:1], 0x80
	s_ashr_i32 s43, s42, 31
	s_mov_b32 s35, s29
	s_wait_xcnt 0x0
	s_mul_u64 s[0:1], s[4:5], s[42:43]
	s_mul_u64 s[4:5], s[16:17], s[42:43]
	s_lshl_b64 s[0:1], s[0:1], 1
	s_lshl_b64 s[16:17], s[4:5], 2
	s_add_nc_u64 s[4:5], s[24:25], s[0:1]
	s_add_nc_u64 s[16:17], s[22:23], s[16:17]
	v_lshlrev_b64_e32 v[4:5], 1, v[0:1]
	v_cmp_gt_i64_e64 s0, s[26:27], v[0:1]
	s_lshl_b64 s[6:7], s[6:7], 1
	s_lshl_b64 s[8:9], s[8:9], 1
	v_add_nc_u64_e32 v[2:3], s[4:5], v[4:5]
	v_add_nc_u64_e32 v[4:5], s[20:21], v[4:5]
	s_mov_b64 s[4:5], 0xffffffff
	s_mov_b64 s[20:21], s[28:29]
	s_branch .LBB33_3
.LBB33_2:                               ;   in Loop: Header=BB33_3 Depth=1
	s_or_b32 exec_lo, exec_lo, s1
	s_add_nc_u64 s[20:21], s[20:21], s[34:35]
	s_delay_alu instid0(SALU_CYCLE_1)
	v_cmp_lt_i64_e64 s1, s[20:21], s[30:31]
	s_and_b32 vcc_lo, exec_lo, s1
	s_cbranch_vccz .LBB33_6
.LBB33_3:                               ; =>This Loop Header: Depth=1
                                        ;     Child Loop BB33_5 Depth 2
	s_and_saveexec_b32 s1, s0
	s_cbranch_execz .LBB33_2
; %bb.4:                                ;   in Loop: Header=BB33_3 Depth=1
	s_and_b64 s[22:23], s[20:21], s[4:5]
	s_load_b32 s28, s[40:41], 0x4
	s_wait_kmcnt 0x0
	s_mul_u64 s[22:23], s[22:23], s[38:39]
	v_mov_b64_e32 v[10:11], v[0:1]
	s_add_co_i32 s22, s23, s20
	s_delay_alu instid0(SALU_CYCLE_1) | instskip(NEXT) | instid1(SALU_CYCLE_1)
	s_lshr_b32 s22, s22, s2
	s_mul_i32 s24, s22, s3
	s_ashr_i32 s23, s22, 31
	s_sub_co_i32 s24, s20, s24
	s_mul_u64 s[42:43], s[18:19], s[22:23]
	s_ashr_i32 s25, s24, 31
	s_mul_u64 s[44:45], s[12:13], s[22:23]
	s_mul_u64 s[46:47], s[6:7], s[22:23]
	s_lshl_b64 s[22:23], s[42:43], 2
	s_mul_u64 s[42:43], s[36:37], s[24:25]
	s_add_nc_u64 s[22:23], s[16:17], s[22:23]
	s_mul_u64 s[48:49], s[8:9], s[24:25]
	s_lshl_b64 s[42:43], s[42:43], 2
	s_mul_u64 s[24:25], s[14:15], s[24:25]
	s_add_nc_u64 s[22:23], s[22:23], s[42:43]
	s_add_nc_u64 s[42:43], s[46:47], s[48:49]
	;; [unrolled: 1-line block ×3, first 2 shown]
	v_add_nc_u64_e32 v[6:7], s[42:43], v[2:3]
	v_add_nc_u64_e32 v[8:9], s[24:25], v[4:5]
	s_mul_i32 s28, s28, s33
	s_mov_b64 s[42:43], 0
	s_lshl_b64 s[24:25], s[28:29], 1
	s_mov_b32 s44, 0
.LBB33_5:                               ;   Parent Loop BB33_3 Depth=1
                                        ; =>  This Inner Loop Header: Depth=2
	global_load_b32 v12, v1, s[22:23]
	v_add_nc_u64_e32 v[10:11], s[28:29], v[10:11]
	s_delay_alu instid0(VALU_DEP_1) | instskip(SKIP_3) | instid1(VALU_DEP_1)
	v_cmp_le_i64_e32 vcc_lo, s[26:27], v[10:11]
	s_or_b32 s44, vcc_lo, s44
	s_wait_loadcnt 0x0
	v_ashrrev_i32_e32 v13, 31, v12
	v_mul_u64_e32 v[12:13], s[10:11], v[12:13]
	s_delay_alu instid0(VALU_DEP_1) | instskip(NEXT) | instid1(VALU_DEP_1)
	v_add_nc_u64_e32 v[12:13], s[42:43], v[12:13]
	v_add_nc_u64_e32 v[12:13], v[8:9], v[12:13]
	global_load_u16 v14, v[12:13], off
	s_wait_xcnt 0x0
	v_add_nc_u64_e32 v[12:13], s[42:43], v[6:7]
	s_add_nc_u64 s[42:43], s[42:43], s[24:25]
	s_wait_loadcnt 0x0
	global_store_b16 v[12:13], v14, off
	s_wait_xcnt 0x0
	s_and_not1_b32 exec_lo, exec_lo, s44
	s_cbranch_execnz .LBB33_5
	s_branch .LBB33_2
.LBB33_6:
	s_endpgm
	.section	.rodata,"a",@progbits
	.p2align	6, 0x0
	.amdhsa_kernel _ZL16k_get_rows_floatI14__hip_bfloat16S0_EvPKT_PKiPT0_ll15HIP_vector_typeIjLj3EEmmmmmmmmm
		.amdhsa_group_segment_fixed_size 0
		.amdhsa_private_segment_fixed_size 0
		.amdhsa_kernarg_size 384
		.amdhsa_user_sgpr_count 2
		.amdhsa_user_sgpr_dispatch_ptr 0
		.amdhsa_user_sgpr_queue_ptr 0
		.amdhsa_user_sgpr_kernarg_segment_ptr 1
		.amdhsa_user_sgpr_dispatch_id 0
		.amdhsa_user_sgpr_kernarg_preload_length 0
		.amdhsa_user_sgpr_kernarg_preload_offset 0
		.amdhsa_user_sgpr_private_segment_size 0
		.amdhsa_wavefront_size32 1
		.amdhsa_uses_dynamic_stack 0
		.amdhsa_enable_private_segment 0
		.amdhsa_system_sgpr_workgroup_id_x 1
		.amdhsa_system_sgpr_workgroup_id_y 1
		.amdhsa_system_sgpr_workgroup_id_z 1
		.amdhsa_system_sgpr_workgroup_info 0
		.amdhsa_system_vgpr_workitem_id 0
		.amdhsa_next_free_vgpr 15
		.amdhsa_next_free_sgpr 50
		.amdhsa_named_barrier_count 0
		.amdhsa_reserve_vcc 1
		.amdhsa_float_round_mode_32 0
		.amdhsa_float_round_mode_16_64 0
		.amdhsa_float_denorm_mode_32 3
		.amdhsa_float_denorm_mode_16_64 3
		.amdhsa_fp16_overflow 0
		.amdhsa_memory_ordered 1
		.amdhsa_forward_progress 1
		.amdhsa_inst_pref_size 5
		.amdhsa_round_robin_scheduling 0
		.amdhsa_exception_fp_ieee_invalid_op 0
		.amdhsa_exception_fp_denorm_src 0
		.amdhsa_exception_fp_ieee_div_zero 0
		.amdhsa_exception_fp_ieee_overflow 0
		.amdhsa_exception_fp_ieee_underflow 0
		.amdhsa_exception_fp_ieee_inexact 0
		.amdhsa_exception_int_div_zero 0
	.end_amdhsa_kernel
	.section	.text._ZL16k_get_rows_floatI14__hip_bfloat16S0_EvPKT_PKiPT0_ll15HIP_vector_typeIjLj3EEmmmmmmmmm,"axG",@progbits,_ZL16k_get_rows_floatI14__hip_bfloat16S0_EvPKT_PKiPT0_ll15HIP_vector_typeIjLj3EEmmmmmmmmm,comdat
.Lfunc_end33:
	.size	_ZL16k_get_rows_floatI14__hip_bfloat16S0_EvPKT_PKiPT0_ll15HIP_vector_typeIjLj3EEmmmmmmmmm, .Lfunc_end33-_ZL16k_get_rows_floatI14__hip_bfloat16S0_EvPKT_PKiPT0_ll15HIP_vector_typeIjLj3EEmmmmmmmmm
                                        ; -- End function
	.set _ZL16k_get_rows_floatI14__hip_bfloat16S0_EvPKT_PKiPT0_ll15HIP_vector_typeIjLj3EEmmmmmmmmm.num_vgpr, 15
	.set _ZL16k_get_rows_floatI14__hip_bfloat16S0_EvPKT_PKiPT0_ll15HIP_vector_typeIjLj3EEmmmmmmmmm.num_agpr, 0
	.set _ZL16k_get_rows_floatI14__hip_bfloat16S0_EvPKT_PKiPT0_ll15HIP_vector_typeIjLj3EEmmmmmmmmm.numbered_sgpr, 50
	.set _ZL16k_get_rows_floatI14__hip_bfloat16S0_EvPKT_PKiPT0_ll15HIP_vector_typeIjLj3EEmmmmmmmmm.num_named_barrier, 0
	.set _ZL16k_get_rows_floatI14__hip_bfloat16S0_EvPKT_PKiPT0_ll15HIP_vector_typeIjLj3EEmmmmmmmmm.private_seg_size, 0
	.set _ZL16k_get_rows_floatI14__hip_bfloat16S0_EvPKT_PKiPT0_ll15HIP_vector_typeIjLj3EEmmmmmmmmm.uses_vcc, 1
	.set _ZL16k_get_rows_floatI14__hip_bfloat16S0_EvPKT_PKiPT0_ll15HIP_vector_typeIjLj3EEmmmmmmmmm.uses_flat_scratch, 0
	.set _ZL16k_get_rows_floatI14__hip_bfloat16S0_EvPKT_PKiPT0_ll15HIP_vector_typeIjLj3EEmmmmmmmmm.has_dyn_sized_stack, 0
	.set _ZL16k_get_rows_floatI14__hip_bfloat16S0_EvPKT_PKiPT0_ll15HIP_vector_typeIjLj3EEmmmmmmmmm.has_recursion, 0
	.set _ZL16k_get_rows_floatI14__hip_bfloat16S0_EvPKT_PKiPT0_ll15HIP_vector_typeIjLj3EEmmmmmmmmm.has_indirect_call, 0
	.section	.AMDGPU.csdata,"",@progbits
; Kernel info:
; codeLenInByte = 612
; TotalNumSgprs: 52
; NumVgprs: 15
; ScratchSize: 0
; MemoryBound: 0
; FloatMode: 240
; IeeeMode: 1
; LDSByteSize: 0 bytes/workgroup (compile time only)
; SGPRBlocks: 0
; VGPRBlocks: 0
; NumSGPRsForWavesPerEU: 52
; NumVGPRsForWavesPerEU: 15
; NamedBarCnt: 0
; Occupancy: 16
; WaveLimiterHint : 1
; COMPUTE_PGM_RSRC2:SCRATCH_EN: 0
; COMPUTE_PGM_RSRC2:USER_SGPR: 2
; COMPUTE_PGM_RSRC2:TRAP_HANDLER: 0
; COMPUTE_PGM_RSRC2:TGID_X_EN: 1
; COMPUTE_PGM_RSRC2:TGID_Y_EN: 1
; COMPUTE_PGM_RSRC2:TGID_Z_EN: 1
; COMPUTE_PGM_RSRC2:TIDIG_COMP_CNT: 0
	.section	.text._ZL10k_get_rowsILi128ELi1EXadL_ZL15dequantize_q1_0PKvliR15HIP_vector_typeIfLj2EEEE14__hip_bfloat16EvS1_PKiPT2_llS2_IjLj3EEmmmmmmmmm,"axG",@progbits,_ZL10k_get_rowsILi128ELi1EXadL_ZL15dequantize_q1_0PKvliR15HIP_vector_typeIfLj2EEEE14__hip_bfloat16EvS1_PKiPT2_llS2_IjLj3EEmmmmmmmmm,comdat
	.globl	_ZL10k_get_rowsILi128ELi1EXadL_ZL15dequantize_q1_0PKvliR15HIP_vector_typeIfLj2EEEE14__hip_bfloat16EvS1_PKiPT2_llS2_IjLj3EEmmmmmmmmm ; -- Begin function _ZL10k_get_rowsILi128ELi1EXadL_ZL15dequantize_q1_0PKvliR15HIP_vector_typeIfLj2EEEE14__hip_bfloat16EvS1_PKiPT2_llS2_IjLj3EEmmmmmmmmm
	.p2align	8
	.type	_ZL10k_get_rowsILi128ELi1EXadL_ZL15dequantize_q1_0PKvliR15HIP_vector_typeIfLj2EEEE14__hip_bfloat16EvS1_PKiPT2_llS2_IjLj3EEmmmmmmmmm,@function
_ZL10k_get_rowsILi128ELi1EXadL_ZL15dequantize_q1_0PKvliR15HIP_vector_typeIfLj2EEEE14__hip_bfloat16EvS1_PKiPT2_llS2_IjLj3EEmmmmmmmmm: ; @_ZL10k_get_rowsILi128ELi1EXadL_ZL15dequantize_q1_0PKvliR15HIP_vector_typeIfLj2EEEE14__hip_bfloat16EvS1_PKiPT2_llS2_IjLj3EEmmmmmmmmm
; %bb.0:
	s_clause 0x1
	s_load_b64 s[2:3], s[0:1], 0x2c
	s_load_b128 s[20:23], s[0:1], 0x18
	s_bfe_u32 s4, ttmp6, 0x40014
	s_lshr_b32 s6, ttmp7, 16
	s_add_co_i32 s4, s4, 1
	s_bfe_u32 s5, ttmp6, 0x40008
	s_mul_i32 s4, s6, s4
	s_mov_b32 s29, 0
	s_getreg_b32 s38, hwreg(HW_REG_IB_STS2, 6, 4)
	s_add_co_i32 s7, s5, s4
	s_cmp_eq_u32 s38, 0
	s_mov_b32 s5, s29
	s_cselect_b32 s28, s6, s7
	s_wait_kmcnt 0x0
	s_mov_b32 s4, s3
	s_delay_alu instid0(SALU_CYCLE_1) | instskip(NEXT) | instid1(SALU_CYCLE_1)
	s_mul_u64 s[22:23], s[22:23], s[4:5]
	v_cmp_le_i64_e64 s4, s[22:23], s[28:29]
	s_and_b32 vcc_lo, exec_lo, s4
	s_cbranch_vccnz .LBB34_6
; %bb.1:
	s_clause 0x5
	s_load_b64 s[30:31], s[0:1], 0x88
	s_load_b64 s[34:35], s[0:1], 0x78
	s_load_b128 s[24:27], s[0:1], 0x0
	s_load_b64 s[40:41], s[0:1], 0x10
	s_load_b32 s36, s[0:1], 0x28
	s_load_b512 s[4:19], s[0:1], 0x38
	s_bfe_u32 s39, ttmp6, 0x4000c
	s_bfe_u32 s43, ttmp6, 0x40010
	s_and_b32 s42, ttmp7, 0xffff
	s_add_co_i32 s39, s39, 1
	s_add_co_i32 s43, s43, 1
	s_and_b32 s33, ttmp6, 15
	s_bfe_u32 s44, ttmp6, 0x40004
	s_mul_i32 s39, ttmp9, s39
	s_mul_i32 s43, s42, s43
	s_add_co_i32 s39, s33, s39
	s_add_co_i32 s44, s44, s43
	s_mov_b32 s37, s29
	s_wait_kmcnt 0x0
	s_and_b32 s33, s31, 0xffff
	s_cmp_eq_u32 s38, 0
	s_cselect_b32 s31, s42, s44
	s_cselect_b32 s38, ttmp9, s39
	s_mul_i32 s31, s31, s33
	s_ashr_i32 s39, s38, 31
	v_add_lshl_u32 v0, s31, v0, 1
	v_mov_b32_e32 v1, 0
	s_mul_u64 s[42:43], s[16:17], s[38:39]
	s_add_nc_u64 s[16:17], s[0:1], 0x80
	s_lshl_b64 s[0:1], s[42:43], 2
	s_mul_u64 s[38:39], s[4:5], s[38:39]
	s_add_nc_u64 s[4:5], s[26:27], s[0:1]
	v_mov_b32_e32 v7, v0
	v_mov_b64_e32 v[2:3], v[0:1]
	v_cmp_gt_i64_e64 s0, s[20:21], v[0:1]
	v_lshlrev_b64_e32 v[4:5], 25, v[0:1]
	v_mov_b32_e32 v6, v1
	s_lshl_b64 s[38:39], s[38:39], 1
	s_mov_b64 s[26:27], 0xffffffff
	s_add_nc_u64 s[38:39], s[40:41], s[38:39]
	s_mov_b32 s31, s29
	s_mov_b64 s[40:41], s[28:29]
	s_branch .LBB34_3
.LBB34_2:                               ;   in Loop: Header=BB34_3 Depth=1
	s_or_b32 exec_lo, exec_lo, s1
	s_add_nc_u64 s[40:41], s[40:41], s[30:31]
	s_delay_alu instid0(SALU_CYCLE_1)
	v_cmp_ge_i64_e64 s1, s[40:41], s[22:23]
	s_and_b32 vcc_lo, exec_lo, s1
	s_cbranch_vccnz .LBB34_6
.LBB34_3:                               ; =>This Loop Header: Depth=1
                                        ;     Child Loop BB34_5 Depth 2
	s_and_saveexec_b32 s1, s0
	s_cbranch_execz .LBB34_2
; %bb.4:                                ;   in Loop: Header=BB34_3 Depth=1
	s_and_b64 s[42:43], s[40:41], s[26:27]
	v_mov_b64_e32 v[8:9], v[6:7]
	s_mul_u64 s[42:43], s[42:43], s[36:37]
	v_mov_b64_e32 v[10:11], v[4:5]
	s_add_co_i32 s28, s43, s40
	v_mov_b64_e32 v[12:13], v[2:3]
	s_lshr_b32 s44, s28, s2
	s_delay_alu instid0(SALU_CYCLE_1)
	s_mul_i32 s28, s44, s3
	s_ashr_i32 s45, s44, 31
	s_sub_co_i32 s46, s40, s28
	s_mul_u64 s[42:43], s[18:19], s[44:45]
	s_ashr_i32 s47, s46, 31
	s_lshl_b64 s[42:43], s[42:43], 2
	s_mul_u64 s[48:49], s[34:35], s[46:47]
	s_add_nc_u64 s[42:43], s[4:5], s[42:43]
	s_lshl_b64 s[48:49], s[48:49], 2
	s_mul_u64 s[50:51], s[6:7], s[44:45]
	s_add_nc_u64 s[42:43], s[42:43], s[48:49]
	s_lshl_b64 s[50:51], s[50:51], 1
	s_load_b32 s48, s[42:43], 0x0
	s_load_b32 s28, s[16:17], 0x4
	s_mul_u64 s[52:53], s[12:13], s[44:45]
	s_add_nc_u64 s[44:45], s[38:39], s[50:51]
	s_mul_u64 s[50:51], s[8:9], s[46:47]
	s_mul_u64 s[54:55], s[14:15], s[46:47]
	s_lshl_b64 s[46:47], s[50:51], 1
	s_wait_xcnt 0x0
	s_mov_b32 s42, 0
	s_add_nc_u64 s[44:45], s[44:45], s[46:47]
	s_mov_b32 s50, s42
	s_wait_kmcnt 0x0
	s_ashr_i32 s49, s48, 31
	s_mul_i32 s28, s28, s33
	s_mul_u64 s[46:47], s[10:11], s[48:49]
	s_mov_b32 s43, s28
	s_add_nc_u64 s[48:49], s[24:25], s[46:47]
	s_lshl_b64 s[46:47], s[28:29], 25
	s_add_nc_u64 s[48:49], s[48:49], s[52:53]
	s_delay_alu instid0(SALU_CYCLE_1)
	s_add_nc_u64 s[48:49], s[48:49], s[54:55]
.LBB34_5:                               ;   Parent Loop BB34_3 Depth=1
                                        ; =>  This Inner Loop Header: Depth=2
	v_and_b32_e32 v0, 0x7f, v12
	v_mad_nc_i64_i32 v[14:15], v11, 18, s[48:49]
	v_add_nc_u64_e32 v[10:11], s[46:47], v[10:11]
	s_delay_alu instid0(VALU_DEP_3) | instskip(SKIP_1) | instid1(VALU_DEP_2)
	v_dual_mov_b32 v17, v1 :: v_dual_add_nc_u32 v20, 1, v0
	v_bfe_u32 v0, v12, 3, 4
	v_lshrrev_b32_e32 v16, 3, v20
	s_delay_alu instid0(VALU_DEP_2) | instskip(NEXT) | instid1(VALU_DEP_2)
	v_add_nc_u64_e32 v[18:19], v[14:15], v[0:1]
	v_add_nc_u64_e32 v[16:17], v[14:15], v[16:17]
	s_clause 0x2
	global_load_u16 v0, v[14:15], off
	global_load_u8 v21, v[18:19], off offset:2
	global_load_u8 v22, v[16:17], off offset:2
	s_wait_xcnt 0x2
	v_and_b32_e32 v15, 7, v20
	v_and_b32_e32 v14, 7, v12
	v_add_nc_u64_e32 v[12:13], s[28:29], v[12:13]
	s_delay_alu instid0(VALU_DEP_1)
	v_cmp_le_i64_e32 vcc_lo, s[20:21], v[12:13]
	s_or_b32 s50, vcc_lo, s50
	s_wait_loadcnt 0x2
	v_cvt_f32_f16_e32 v0, v0
	s_wait_loadcnt 0x0
	v_dual_lshrrev_b32 v15, v15, v22 :: v_dual_lshrrev_b32 v14, v14, v21
	s_delay_alu instid0(VALU_DEP_1) | instskip(NEXT) | instid1(VALU_DEP_1)
	v_dual_lshlrev_b32 v15, 1, v15 :: v_dual_lshlrev_b32 v14, 1, v14
	v_and_b32_e32 v15, 2, v15
	s_delay_alu instid0(VALU_DEP_1) | instskip(NEXT) | instid1(VALU_DEP_1)
	v_dual_add_nc_u32 v15, -1, v15 :: v_dual_bitop2_b32 v14, 2, v14 bitop3:0x40
	v_add_nc_u32_e32 v14, -1, v14
	s_wait_xcnt 0x0
	s_delay_alu instid0(VALU_DEP_2) | instskip(NEXT) | instid1(VALU_DEP_2)
	v_cvt_f32_i32_e32 v17, v15
	v_cvt_f32_i32_e32 v16, v14
	v_ashrrev_i64 v[14:15], 31, v[8:9]
	v_add_nc_u64_e32 v[8:9], s[42:43], v[8:9]
	s_delay_alu instid0(VALU_DEP_3) | instskip(NEXT) | instid1(VALU_DEP_3)
	v_dual_mul_f32 v16, v0, v16 :: v_dual_mul_f32 v0, v0, v17
	v_add_nc_u64_e32 v[14:15], s[44:45], v[14:15]
	s_delay_alu instid0(VALU_DEP_2)
	v_cvt_pk_bf16_f32 v0, v16, v0
	global_store_b32 v[14:15], v0, off
	s_wait_xcnt 0x0
	s_and_not1_b32 exec_lo, exec_lo, s50
	s_cbranch_execnz .LBB34_5
	s_branch .LBB34_2
.LBB34_6:
	s_endpgm
	.section	.rodata,"a",@progbits
	.p2align	6, 0x0
	.amdhsa_kernel _ZL10k_get_rowsILi128ELi1EXadL_ZL15dequantize_q1_0PKvliR15HIP_vector_typeIfLj2EEEE14__hip_bfloat16EvS1_PKiPT2_llS2_IjLj3EEmmmmmmmmm
		.amdhsa_group_segment_fixed_size 0
		.amdhsa_private_segment_fixed_size 0
		.amdhsa_kernarg_size 384
		.amdhsa_user_sgpr_count 2
		.amdhsa_user_sgpr_dispatch_ptr 0
		.amdhsa_user_sgpr_queue_ptr 0
		.amdhsa_user_sgpr_kernarg_segment_ptr 1
		.amdhsa_user_sgpr_dispatch_id 0
		.amdhsa_user_sgpr_kernarg_preload_length 0
		.amdhsa_user_sgpr_kernarg_preload_offset 0
		.amdhsa_user_sgpr_private_segment_size 0
		.amdhsa_wavefront_size32 1
		.amdhsa_uses_dynamic_stack 0
		.amdhsa_enable_private_segment 0
		.amdhsa_system_sgpr_workgroup_id_x 1
		.amdhsa_system_sgpr_workgroup_id_y 1
		.amdhsa_system_sgpr_workgroup_id_z 1
		.amdhsa_system_sgpr_workgroup_info 0
		.amdhsa_system_vgpr_workitem_id 0
		.amdhsa_next_free_vgpr 23
		.amdhsa_next_free_sgpr 56
		.amdhsa_named_barrier_count 0
		.amdhsa_reserve_vcc 1
		.amdhsa_float_round_mode_32 0
		.amdhsa_float_round_mode_16_64 0
		.amdhsa_float_denorm_mode_32 3
		.amdhsa_float_denorm_mode_16_64 3
		.amdhsa_fp16_overflow 0
		.amdhsa_memory_ordered 1
		.amdhsa_forward_progress 1
		.amdhsa_inst_pref_size 7
		.amdhsa_round_robin_scheduling 0
		.amdhsa_exception_fp_ieee_invalid_op 0
		.amdhsa_exception_fp_denorm_src 0
		.amdhsa_exception_fp_ieee_div_zero 0
		.amdhsa_exception_fp_ieee_overflow 0
		.amdhsa_exception_fp_ieee_underflow 0
		.amdhsa_exception_fp_ieee_inexact 0
		.amdhsa_exception_int_div_zero 0
	.end_amdhsa_kernel
	.section	.text._ZL10k_get_rowsILi128ELi1EXadL_ZL15dequantize_q1_0PKvliR15HIP_vector_typeIfLj2EEEE14__hip_bfloat16EvS1_PKiPT2_llS2_IjLj3EEmmmmmmmmm,"axG",@progbits,_ZL10k_get_rowsILi128ELi1EXadL_ZL15dequantize_q1_0PKvliR15HIP_vector_typeIfLj2EEEE14__hip_bfloat16EvS1_PKiPT2_llS2_IjLj3EEmmmmmmmmm,comdat
.Lfunc_end34:
	.size	_ZL10k_get_rowsILi128ELi1EXadL_ZL15dequantize_q1_0PKvliR15HIP_vector_typeIfLj2EEEE14__hip_bfloat16EvS1_PKiPT2_llS2_IjLj3EEmmmmmmmmm, .Lfunc_end34-_ZL10k_get_rowsILi128ELi1EXadL_ZL15dequantize_q1_0PKvliR15HIP_vector_typeIfLj2EEEE14__hip_bfloat16EvS1_PKiPT2_llS2_IjLj3EEmmmmmmmmm
                                        ; -- End function
	.set _ZL10k_get_rowsILi128ELi1EXadL_ZL15dequantize_q1_0PKvliR15HIP_vector_typeIfLj2EEEE14__hip_bfloat16EvS1_PKiPT2_llS2_IjLj3EEmmmmmmmmm.num_vgpr, 23
	.set _ZL10k_get_rowsILi128ELi1EXadL_ZL15dequantize_q1_0PKvliR15HIP_vector_typeIfLj2EEEE14__hip_bfloat16EvS1_PKiPT2_llS2_IjLj3EEmmmmmmmmm.num_agpr, 0
	.set _ZL10k_get_rowsILi128ELi1EXadL_ZL15dequantize_q1_0PKvliR15HIP_vector_typeIfLj2EEEE14__hip_bfloat16EvS1_PKiPT2_llS2_IjLj3EEmmmmmmmmm.numbered_sgpr, 56
	.set _ZL10k_get_rowsILi128ELi1EXadL_ZL15dequantize_q1_0PKvliR15HIP_vector_typeIfLj2EEEE14__hip_bfloat16EvS1_PKiPT2_llS2_IjLj3EEmmmmmmmmm.num_named_barrier, 0
	.set _ZL10k_get_rowsILi128ELi1EXadL_ZL15dequantize_q1_0PKvliR15HIP_vector_typeIfLj2EEEE14__hip_bfloat16EvS1_PKiPT2_llS2_IjLj3EEmmmmmmmmm.private_seg_size, 0
	.set _ZL10k_get_rowsILi128ELi1EXadL_ZL15dequantize_q1_0PKvliR15HIP_vector_typeIfLj2EEEE14__hip_bfloat16EvS1_PKiPT2_llS2_IjLj3EEmmmmmmmmm.uses_vcc, 1
	.set _ZL10k_get_rowsILi128ELi1EXadL_ZL15dequantize_q1_0PKvliR15HIP_vector_typeIfLj2EEEE14__hip_bfloat16EvS1_PKiPT2_llS2_IjLj3EEmmmmmmmmm.uses_flat_scratch, 0
	.set _ZL10k_get_rowsILi128ELi1EXadL_ZL15dequantize_q1_0PKvliR15HIP_vector_typeIfLj2EEEE14__hip_bfloat16EvS1_PKiPT2_llS2_IjLj3EEmmmmmmmmm.has_dyn_sized_stack, 0
	.set _ZL10k_get_rowsILi128ELi1EXadL_ZL15dequantize_q1_0PKvliR15HIP_vector_typeIfLj2EEEE14__hip_bfloat16EvS1_PKiPT2_llS2_IjLj3EEmmmmmmmmm.has_recursion, 0
	.set _ZL10k_get_rowsILi128ELi1EXadL_ZL15dequantize_q1_0PKvliR15HIP_vector_typeIfLj2EEEE14__hip_bfloat16EvS1_PKiPT2_llS2_IjLj3EEmmmmmmmmm.has_indirect_call, 0
	.section	.AMDGPU.csdata,"",@progbits
; Kernel info:
; codeLenInByte = 828
; TotalNumSgprs: 58
; NumVgprs: 23
; ScratchSize: 0
; MemoryBound: 0
; FloatMode: 240
; IeeeMode: 1
; LDSByteSize: 0 bytes/workgroup (compile time only)
; SGPRBlocks: 0
; VGPRBlocks: 1
; NumSGPRsForWavesPerEU: 58
; NumVGPRsForWavesPerEU: 23
; NamedBarCnt: 0
; Occupancy: 16
; WaveLimiterHint : 1
; COMPUTE_PGM_RSRC2:SCRATCH_EN: 0
; COMPUTE_PGM_RSRC2:USER_SGPR: 2
; COMPUTE_PGM_RSRC2:TRAP_HANDLER: 0
; COMPUTE_PGM_RSRC2:TGID_X_EN: 1
; COMPUTE_PGM_RSRC2:TGID_Y_EN: 1
; COMPUTE_PGM_RSRC2:TGID_Z_EN: 1
; COMPUTE_PGM_RSRC2:TIDIG_COMP_CNT: 0
	.section	.text._ZL10k_get_rowsILi32ELi2EXadL_ZL15dequantize_q4_0PKvliR15HIP_vector_typeIfLj2EEEE14__hip_bfloat16EvS1_PKiPT2_llS2_IjLj3EEmmmmmmmmm,"axG",@progbits,_ZL10k_get_rowsILi32ELi2EXadL_ZL15dequantize_q4_0PKvliR15HIP_vector_typeIfLj2EEEE14__hip_bfloat16EvS1_PKiPT2_llS2_IjLj3EEmmmmmmmmm,comdat
	.globl	_ZL10k_get_rowsILi32ELi2EXadL_ZL15dequantize_q4_0PKvliR15HIP_vector_typeIfLj2EEEE14__hip_bfloat16EvS1_PKiPT2_llS2_IjLj3EEmmmmmmmmm ; -- Begin function _ZL10k_get_rowsILi32ELi2EXadL_ZL15dequantize_q4_0PKvliR15HIP_vector_typeIfLj2EEEE14__hip_bfloat16EvS1_PKiPT2_llS2_IjLj3EEmmmmmmmmm
	.p2align	8
	.type	_ZL10k_get_rowsILi32ELi2EXadL_ZL15dequantize_q4_0PKvliR15HIP_vector_typeIfLj2EEEE14__hip_bfloat16EvS1_PKiPT2_llS2_IjLj3EEmmmmmmmmm,@function
_ZL10k_get_rowsILi32ELi2EXadL_ZL15dequantize_q4_0PKvliR15HIP_vector_typeIfLj2EEEE14__hip_bfloat16EvS1_PKiPT2_llS2_IjLj3EEmmmmmmmmm: ; @_ZL10k_get_rowsILi32ELi2EXadL_ZL15dequantize_q4_0PKvliR15HIP_vector_typeIfLj2EEEE14__hip_bfloat16EvS1_PKiPT2_llS2_IjLj3EEmmmmmmmmm
; %bb.0:
	s_clause 0x1
	s_load_b64 s[2:3], s[0:1], 0x2c
	s_load_b128 s[20:23], s[0:1], 0x18
	s_bfe_u32 s4, ttmp6, 0x40014
	s_lshr_b32 s6, ttmp7, 16
	s_add_co_i32 s4, s4, 1
	s_bfe_u32 s5, ttmp6, 0x40008
	s_mul_i32 s4, s6, s4
	s_mov_b32 s29, 0
	s_getreg_b32 s38, hwreg(HW_REG_IB_STS2, 6, 4)
	s_add_co_i32 s7, s5, s4
	s_cmp_eq_u32 s38, 0
	s_mov_b32 s5, s29
	s_cselect_b32 s28, s6, s7
	s_wait_kmcnt 0x0
	s_mov_b32 s4, s3
	s_delay_alu instid0(SALU_CYCLE_1) | instskip(NEXT) | instid1(SALU_CYCLE_1)
	s_mul_u64 s[22:23], s[22:23], s[4:5]
	v_cmp_le_i64_e64 s4, s[22:23], s[28:29]
	s_and_b32 vcc_lo, exec_lo, s4
	s_cbranch_vccnz .LBB35_6
; %bb.1:
	s_clause 0x5
	s_load_b64 s[30:31], s[0:1], 0x88
	s_load_b64 s[34:35], s[0:1], 0x78
	s_load_b128 s[24:27], s[0:1], 0x0
	s_load_b64 s[40:41], s[0:1], 0x10
	s_load_b32 s36, s[0:1], 0x28
	s_load_b512 s[4:19], s[0:1], 0x38
	s_bfe_u32 s39, ttmp6, 0x4000c
	s_bfe_u32 s43, ttmp6, 0x40010
	s_and_b32 s42, ttmp7, 0xffff
	s_add_co_i32 s39, s39, 1
	s_add_co_i32 s43, s43, 1
	s_and_b32 s33, ttmp6, 15
	s_bfe_u32 s44, ttmp6, 0x40004
	s_mul_i32 s39, ttmp9, s39
	s_mul_i32 s43, s42, s43
	s_add_co_i32 s39, s33, s39
	s_add_co_i32 s44, s44, s43
	v_mov_b32_e32 v1, 0
	s_mov_b32 s37, s29
	s_wait_kmcnt 0x0
	s_and_b32 s33, s31, 0xffff
	s_cmp_eq_u32 s38, 0
	s_cselect_b32 s31, s42, s44
	s_cselect_b32 s42, ttmp9, s39
	s_mul_i32 s31, s31, s33
	s_ashr_i32 s43, s42, 31
	v_add_lshl_u32 v0, s31, v0, 1
	s_add_nc_u64 s[38:39], s[0:1], 0x80
	s_mul_u64 s[0:1], s[16:17], s[42:43]
	s_mul_u64 s[16:17], s[4:5], s[42:43]
	s_lshl_b64 s[42:43], s[0:1], 2
	v_mov_b64_e32 v[2:3], v[0:1]
	v_cmp_gt_i64_e64 s0, s[20:21], v[0:1]
	v_lshlrev_b64_e32 v[4:5], 27, v[0:1]
	s_lshl_b64 s[44:45], s[16:17], 1
	s_mov_b64 s[4:5], 0xffffffff
	s_add_nc_u64 s[16:17], s[26:27], s[42:43]
	s_add_nc_u64 s[26:27], s[40:41], s[44:45]
	s_mov_b32 s31, s29
	s_mov_b64 s[40:41], s[28:29]
	s_branch .LBB35_3
.LBB35_2:                               ;   in Loop: Header=BB35_3 Depth=1
	s_or_b32 exec_lo, exec_lo, s1
	s_add_nc_u64 s[40:41], s[40:41], s[30:31]
	s_delay_alu instid0(SALU_CYCLE_1)
	v_cmp_ge_i64_e64 s1, s[40:41], s[22:23]
	s_and_b32 vcc_lo, exec_lo, s1
	s_cbranch_vccnz .LBB35_6
.LBB35_3:                               ; =>This Loop Header: Depth=1
                                        ;     Child Loop BB35_5 Depth 2
	s_and_saveexec_b32 s1, s0
	s_cbranch_execz .LBB35_2
; %bb.4:                                ;   in Loop: Header=BB35_3 Depth=1
	s_and_b64 s[42:43], s[40:41], s[4:5]
	v_mov_b64_e32 v[6:7], v[4:5]
	s_mul_u64 s[42:43], s[42:43], s[36:37]
	v_mov_b64_e32 v[8:9], v[2:3]
	s_add_co_i32 s28, s43, s40
	s_delay_alu instid0(SALU_CYCLE_1) | instskip(NEXT) | instid1(SALU_CYCLE_1)
	s_lshr_b32 s42, s28, s2
	s_mul_i32 s28, s42, s3
	s_ashr_i32 s43, s42, 31
	s_sub_co_i32 s44, s40, s28
	s_mul_u64 s[46:47], s[18:19], s[42:43]
	s_ashr_i32 s45, s44, 31
	s_lshl_b64 s[46:47], s[46:47], 2
	s_mul_u64 s[48:49], s[34:35], s[44:45]
	s_add_nc_u64 s[46:47], s[16:17], s[46:47]
	s_lshl_b64 s[48:49], s[48:49], 2
	s_mul_u64 s[50:51], s[12:13], s[42:43]
	s_add_nc_u64 s[46:47], s[46:47], s[48:49]
	s_mul_u64 s[52:53], s[14:15], s[44:45]
	s_load_b32 s48, s[46:47], 0x0
	s_load_b32 s28, s[38:39], 0x4
	s_wait_xcnt 0x0
	s_mul_u64 s[46:47], s[6:7], s[42:43]
	s_delay_alu instid0(SALU_CYCLE_1) | instskip(NEXT) | instid1(SALU_CYCLE_1)
	s_lshl_b64 s[46:47], s[46:47], 1
	s_add_nc_u64 s[42:43], s[26:27], s[46:47]
	s_mul_u64 s[46:47], s[8:9], s[44:45]
	s_delay_alu instid0(SALU_CYCLE_1) | instskip(NEXT) | instid1(SALU_CYCLE_1)
	s_lshl_b64 s[44:45], s[46:47], 1
	s_add_nc_u64 s[42:43], s[42:43], s[44:45]
	s_wait_kmcnt 0x0
	s_ashr_i32 s49, s48, 31
	s_mul_i32 s28, s28, s33
	s_mul_u64 s[46:47], s[10:11], s[48:49]
	s_mov_b32 s48, 0
	s_add_nc_u64 s[44:45], s[24:25], s[46:47]
	s_delay_alu instid0(SALU_CYCLE_1)
	s_add_nc_u64 s[46:47], s[44:45], s[50:51]
	s_lshl_b64 s[44:45], s[28:29], 27
	s_add_nc_u64 s[46:47], s[46:47], s[52:53]
.LBB35_5:                               ;   Parent Loop BB35_3 Depth=1
                                        ; =>  This Inner Loop Header: Depth=2
	s_delay_alu instid0(SALU_CYCLE_1) | instskip(SKIP_2) | instid1(VALU_DEP_2)
	v_mad_nc_i64_i32 v[10:11], v7, 18, s[46:47]
	v_bfe_u32 v0, v8, 1, 4
	v_add_nc_u64_e32 v[6:7], s[44:45], v[6:7]
	v_add_nc_u64_e32 v[12:13], v[10:11], v[0:1]
	v_and_or_b32 v0, 0xffffffe0, v8, v0
	v_add_nc_u64_e32 v[8:9], s[28:29], v[8:9]
	s_clause 0x1
	global_load_u16 v14, v[10:11], off
	global_load_u8 v15, v[12:13], off offset:2
	v_cmp_le_i64_e32 vcc_lo, s[20:21], v[8:9]
	s_or_b32 s48, vcc_lo, s48
	s_wait_loadcnt 0x0
	s_wait_xcnt 0x1
	v_dual_lshrrev_b32 v11, 4, v15 :: v_dual_bitop2_b32 v10, 15, v15 bitop3:0x40
	s_delay_alu instid0(VALU_DEP_1) | instskip(NEXT) | instid1(VALU_DEP_1)
	v_dual_add_nc_u32 v10, -8, v10 :: v_dual_add_nc_u32 v11, -8, v11
	v_cvt_f32_i32_e32 v10, v10
	s_delay_alu instid0(VALU_DEP_2) | instskip(NEXT) | instid1(VALU_DEP_2)
	v_cvt_f32_i32_e32 v11, v11
	v_fma_mixlo_bf16 v10, v14, v10, 0
	s_delay_alu instid0(VALU_DEP_2)
	v_fma_mixlo_bf16 v11, v14, v11, 0
	s_clause 0x1
	global_store_b16 v0, v10, s[42:43] scale_offset
	global_store_b16 v0, v11, s[42:43] offset:32 scale_offset
	s_wait_xcnt 0x0
	s_and_not1_b32 exec_lo, exec_lo, s48
	s_cbranch_execnz .LBB35_5
	s_branch .LBB35_2
.LBB35_6:
	s_endpgm
	.section	.rodata,"a",@progbits
	.p2align	6, 0x0
	.amdhsa_kernel _ZL10k_get_rowsILi32ELi2EXadL_ZL15dequantize_q4_0PKvliR15HIP_vector_typeIfLj2EEEE14__hip_bfloat16EvS1_PKiPT2_llS2_IjLj3EEmmmmmmmmm
		.amdhsa_group_segment_fixed_size 0
		.amdhsa_private_segment_fixed_size 0
		.amdhsa_kernarg_size 384
		.amdhsa_user_sgpr_count 2
		.amdhsa_user_sgpr_dispatch_ptr 0
		.amdhsa_user_sgpr_queue_ptr 0
		.amdhsa_user_sgpr_kernarg_segment_ptr 1
		.amdhsa_user_sgpr_dispatch_id 0
		.amdhsa_user_sgpr_kernarg_preload_length 0
		.amdhsa_user_sgpr_kernarg_preload_offset 0
		.amdhsa_user_sgpr_private_segment_size 0
		.amdhsa_wavefront_size32 1
		.amdhsa_uses_dynamic_stack 0
		.amdhsa_enable_private_segment 0
		.amdhsa_system_sgpr_workgroup_id_x 1
		.amdhsa_system_sgpr_workgroup_id_y 1
		.amdhsa_system_sgpr_workgroup_id_z 1
		.amdhsa_system_sgpr_workgroup_info 0
		.amdhsa_system_vgpr_workitem_id 0
		.amdhsa_next_free_vgpr 16
		.amdhsa_next_free_sgpr 54
		.amdhsa_named_barrier_count 0
		.amdhsa_reserve_vcc 1
		.amdhsa_float_round_mode_32 0
		.amdhsa_float_round_mode_16_64 0
		.amdhsa_float_denorm_mode_32 3
		.amdhsa_float_denorm_mode_16_64 3
		.amdhsa_fp16_overflow 0
		.amdhsa_memory_ordered 1
		.amdhsa_forward_progress 1
		.amdhsa_inst_pref_size 6
		.amdhsa_round_robin_scheduling 0
		.amdhsa_exception_fp_ieee_invalid_op 0
		.amdhsa_exception_fp_denorm_src 0
		.amdhsa_exception_fp_ieee_div_zero 0
		.amdhsa_exception_fp_ieee_overflow 0
		.amdhsa_exception_fp_ieee_underflow 0
		.amdhsa_exception_fp_ieee_inexact 0
		.amdhsa_exception_int_div_zero 0
	.end_amdhsa_kernel
	.section	.text._ZL10k_get_rowsILi32ELi2EXadL_ZL15dequantize_q4_0PKvliR15HIP_vector_typeIfLj2EEEE14__hip_bfloat16EvS1_PKiPT2_llS2_IjLj3EEmmmmmmmmm,"axG",@progbits,_ZL10k_get_rowsILi32ELi2EXadL_ZL15dequantize_q4_0PKvliR15HIP_vector_typeIfLj2EEEE14__hip_bfloat16EvS1_PKiPT2_llS2_IjLj3EEmmmmmmmmm,comdat
.Lfunc_end35:
	.size	_ZL10k_get_rowsILi32ELi2EXadL_ZL15dequantize_q4_0PKvliR15HIP_vector_typeIfLj2EEEE14__hip_bfloat16EvS1_PKiPT2_llS2_IjLj3EEmmmmmmmmm, .Lfunc_end35-_ZL10k_get_rowsILi32ELi2EXadL_ZL15dequantize_q4_0PKvliR15HIP_vector_typeIfLj2EEEE14__hip_bfloat16EvS1_PKiPT2_llS2_IjLj3EEmmmmmmmmm
                                        ; -- End function
	.set _ZL10k_get_rowsILi32ELi2EXadL_ZL15dequantize_q4_0PKvliR15HIP_vector_typeIfLj2EEEE14__hip_bfloat16EvS1_PKiPT2_llS2_IjLj3EEmmmmmmmmm.num_vgpr, 16
	.set _ZL10k_get_rowsILi32ELi2EXadL_ZL15dequantize_q4_0PKvliR15HIP_vector_typeIfLj2EEEE14__hip_bfloat16EvS1_PKiPT2_llS2_IjLj3EEmmmmmmmmm.num_agpr, 0
	.set _ZL10k_get_rowsILi32ELi2EXadL_ZL15dequantize_q4_0PKvliR15HIP_vector_typeIfLj2EEEE14__hip_bfloat16EvS1_PKiPT2_llS2_IjLj3EEmmmmmmmmm.numbered_sgpr, 54
	.set _ZL10k_get_rowsILi32ELi2EXadL_ZL15dequantize_q4_0PKvliR15HIP_vector_typeIfLj2EEEE14__hip_bfloat16EvS1_PKiPT2_llS2_IjLj3EEmmmmmmmmm.num_named_barrier, 0
	.set _ZL10k_get_rowsILi32ELi2EXadL_ZL15dequantize_q4_0PKvliR15HIP_vector_typeIfLj2EEEE14__hip_bfloat16EvS1_PKiPT2_llS2_IjLj3EEmmmmmmmmm.private_seg_size, 0
	.set _ZL10k_get_rowsILi32ELi2EXadL_ZL15dequantize_q4_0PKvliR15HIP_vector_typeIfLj2EEEE14__hip_bfloat16EvS1_PKiPT2_llS2_IjLj3EEmmmmmmmmm.uses_vcc, 1
	.set _ZL10k_get_rowsILi32ELi2EXadL_ZL15dequantize_q4_0PKvliR15HIP_vector_typeIfLj2EEEE14__hip_bfloat16EvS1_PKiPT2_llS2_IjLj3EEmmmmmmmmm.uses_flat_scratch, 0
	.set _ZL10k_get_rowsILi32ELi2EXadL_ZL15dequantize_q4_0PKvliR15HIP_vector_typeIfLj2EEEE14__hip_bfloat16EvS1_PKiPT2_llS2_IjLj3EEmmmmmmmmm.has_dyn_sized_stack, 0
	.set _ZL10k_get_rowsILi32ELi2EXadL_ZL15dequantize_q4_0PKvliR15HIP_vector_typeIfLj2EEEE14__hip_bfloat16EvS1_PKiPT2_llS2_IjLj3EEmmmmmmmmm.has_recursion, 0
	.set _ZL10k_get_rowsILi32ELi2EXadL_ZL15dequantize_q4_0PKvliR15HIP_vector_typeIfLj2EEEE14__hip_bfloat16EvS1_PKiPT2_llS2_IjLj3EEmmmmmmmmm.has_indirect_call, 0
	.section	.AMDGPU.csdata,"",@progbits
; Kernel info:
; codeLenInByte = 732
; TotalNumSgprs: 56
; NumVgprs: 16
; ScratchSize: 0
; MemoryBound: 0
; FloatMode: 240
; IeeeMode: 1
; LDSByteSize: 0 bytes/workgroup (compile time only)
; SGPRBlocks: 0
; VGPRBlocks: 0
; NumSGPRsForWavesPerEU: 56
; NumVGPRsForWavesPerEU: 16
; NamedBarCnt: 0
; Occupancy: 16
; WaveLimiterHint : 1
; COMPUTE_PGM_RSRC2:SCRATCH_EN: 0
; COMPUTE_PGM_RSRC2:USER_SGPR: 2
; COMPUTE_PGM_RSRC2:TRAP_HANDLER: 0
; COMPUTE_PGM_RSRC2:TGID_X_EN: 1
; COMPUTE_PGM_RSRC2:TGID_Y_EN: 1
; COMPUTE_PGM_RSRC2:TGID_Z_EN: 1
; COMPUTE_PGM_RSRC2:TIDIG_COMP_CNT: 0
	.section	.text._ZL10k_get_rowsILi32ELi2EXadL_ZL15dequantize_q4_1PKvliR15HIP_vector_typeIfLj2EEEE14__hip_bfloat16EvS1_PKiPT2_llS2_IjLj3EEmmmmmmmmm,"axG",@progbits,_ZL10k_get_rowsILi32ELi2EXadL_ZL15dequantize_q4_1PKvliR15HIP_vector_typeIfLj2EEEE14__hip_bfloat16EvS1_PKiPT2_llS2_IjLj3EEmmmmmmmmm,comdat
	.globl	_ZL10k_get_rowsILi32ELi2EXadL_ZL15dequantize_q4_1PKvliR15HIP_vector_typeIfLj2EEEE14__hip_bfloat16EvS1_PKiPT2_llS2_IjLj3EEmmmmmmmmm ; -- Begin function _ZL10k_get_rowsILi32ELi2EXadL_ZL15dequantize_q4_1PKvliR15HIP_vector_typeIfLj2EEEE14__hip_bfloat16EvS1_PKiPT2_llS2_IjLj3EEmmmmmmmmm
	.p2align	8
	.type	_ZL10k_get_rowsILi32ELi2EXadL_ZL15dequantize_q4_1PKvliR15HIP_vector_typeIfLj2EEEE14__hip_bfloat16EvS1_PKiPT2_llS2_IjLj3EEmmmmmmmmm,@function
_ZL10k_get_rowsILi32ELi2EXadL_ZL15dequantize_q4_1PKvliR15HIP_vector_typeIfLj2EEEE14__hip_bfloat16EvS1_PKiPT2_llS2_IjLj3EEmmmmmmmmm: ; @_ZL10k_get_rowsILi32ELi2EXadL_ZL15dequantize_q4_1PKvliR15HIP_vector_typeIfLj2EEEE14__hip_bfloat16EvS1_PKiPT2_llS2_IjLj3EEmmmmmmmmm
; %bb.0:
	s_clause 0x1
	s_load_b64 s[2:3], s[0:1], 0x2c
	s_load_b128 s[20:23], s[0:1], 0x18
	s_bfe_u32 s4, ttmp6, 0x40014
	s_lshr_b32 s6, ttmp7, 16
	s_add_co_i32 s4, s4, 1
	s_bfe_u32 s5, ttmp6, 0x40008
	s_mul_i32 s4, s6, s4
	s_mov_b32 s29, 0
	s_getreg_b32 s38, hwreg(HW_REG_IB_STS2, 6, 4)
	s_add_co_i32 s7, s5, s4
	s_cmp_eq_u32 s38, 0
	s_mov_b32 s5, s29
	s_cselect_b32 s28, s6, s7
	s_wait_kmcnt 0x0
	s_mov_b32 s4, s3
	s_delay_alu instid0(SALU_CYCLE_1) | instskip(NEXT) | instid1(SALU_CYCLE_1)
	s_mul_u64 s[22:23], s[22:23], s[4:5]
	v_cmp_le_i64_e64 s4, s[22:23], s[28:29]
	s_and_b32 vcc_lo, exec_lo, s4
	s_cbranch_vccnz .LBB36_6
; %bb.1:
	s_clause 0x5
	s_load_b64 s[30:31], s[0:1], 0x88
	s_load_b64 s[34:35], s[0:1], 0x78
	s_load_b128 s[24:27], s[0:1], 0x0
	s_load_b64 s[40:41], s[0:1], 0x10
	s_load_b32 s36, s[0:1], 0x28
	s_load_b512 s[4:19], s[0:1], 0x38
	s_bfe_u32 s39, ttmp6, 0x4000c
	s_bfe_u32 s43, ttmp6, 0x40010
	s_and_b32 s42, ttmp7, 0xffff
	s_add_co_i32 s39, s39, 1
	s_add_co_i32 s43, s43, 1
	s_and_b32 s33, ttmp6, 15
	s_bfe_u32 s44, ttmp6, 0x40004
	s_mul_i32 s39, ttmp9, s39
	s_mul_i32 s43, s42, s43
	s_add_co_i32 s39, s33, s39
	s_add_co_i32 s44, s44, s43
	v_mov_b32_e32 v1, 0
	s_mov_b32 s37, s29
	s_wait_kmcnt 0x0
	s_and_b32 s33, s31, 0xffff
	s_cmp_eq_u32 s38, 0
	s_cselect_b32 s31, s42, s44
	s_cselect_b32 s42, ttmp9, s39
	s_mul_i32 s31, s31, s33
	s_ashr_i32 s43, s42, 31
	v_add_lshl_u32 v0, s31, v0, 1
	s_add_nc_u64 s[38:39], s[0:1], 0x80
	s_mul_u64 s[0:1], s[16:17], s[42:43]
	s_mul_u64 s[16:17], s[4:5], s[42:43]
	s_lshl_b64 s[42:43], s[0:1], 2
	v_mov_b64_e32 v[2:3], v[0:1]
	v_cmp_gt_i64_e64 s0, s[20:21], v[0:1]
	v_lshlrev_b64_e32 v[4:5], 27, v[0:1]
	s_lshl_b64 s[44:45], s[16:17], 1
	s_mov_b64 s[4:5], 0xffffffff
	s_add_nc_u64 s[16:17], s[26:27], s[42:43]
	s_add_nc_u64 s[26:27], s[40:41], s[44:45]
	s_mov_b32 s31, s29
	s_mov_b64 s[40:41], s[28:29]
	s_branch .LBB36_3
.LBB36_2:                               ;   in Loop: Header=BB36_3 Depth=1
	s_or_b32 exec_lo, exec_lo, s1
	s_add_nc_u64 s[40:41], s[40:41], s[30:31]
	s_delay_alu instid0(SALU_CYCLE_1)
	v_cmp_ge_i64_e64 s1, s[40:41], s[22:23]
	s_and_b32 vcc_lo, exec_lo, s1
	s_cbranch_vccnz .LBB36_6
.LBB36_3:                               ; =>This Loop Header: Depth=1
                                        ;     Child Loop BB36_5 Depth 2
	s_and_saveexec_b32 s1, s0
	s_cbranch_execz .LBB36_2
; %bb.4:                                ;   in Loop: Header=BB36_3 Depth=1
	s_and_b64 s[42:43], s[40:41], s[4:5]
	v_mov_b64_e32 v[6:7], v[4:5]
	s_mul_u64 s[42:43], s[42:43], s[36:37]
	v_mov_b64_e32 v[8:9], v[2:3]
	s_add_co_i32 s28, s43, s40
	s_delay_alu instid0(SALU_CYCLE_1) | instskip(NEXT) | instid1(SALU_CYCLE_1)
	s_lshr_b32 s42, s28, s2
	s_mul_i32 s28, s42, s3
	s_ashr_i32 s43, s42, 31
	s_sub_co_i32 s44, s40, s28
	s_mul_u64 s[46:47], s[18:19], s[42:43]
	s_ashr_i32 s45, s44, 31
	s_lshl_b64 s[46:47], s[46:47], 2
	s_mul_u64 s[48:49], s[34:35], s[44:45]
	s_add_nc_u64 s[46:47], s[16:17], s[46:47]
	s_lshl_b64 s[48:49], s[48:49], 2
	s_mul_u64 s[50:51], s[12:13], s[42:43]
	s_add_nc_u64 s[46:47], s[46:47], s[48:49]
	s_mul_u64 s[52:53], s[14:15], s[44:45]
	s_load_b32 s48, s[46:47], 0x0
	s_load_b32 s28, s[38:39], 0x4
	s_wait_xcnt 0x0
	s_mul_u64 s[46:47], s[6:7], s[42:43]
	s_delay_alu instid0(SALU_CYCLE_1) | instskip(NEXT) | instid1(SALU_CYCLE_1)
	s_lshl_b64 s[46:47], s[46:47], 1
	s_add_nc_u64 s[42:43], s[26:27], s[46:47]
	s_mul_u64 s[46:47], s[8:9], s[44:45]
	s_delay_alu instid0(SALU_CYCLE_1) | instskip(NEXT) | instid1(SALU_CYCLE_1)
	s_lshl_b64 s[44:45], s[46:47], 1
	s_add_nc_u64 s[42:43], s[42:43], s[44:45]
	s_wait_kmcnt 0x0
	s_ashr_i32 s49, s48, 31
	s_mul_i32 s28, s28, s33
	s_mul_u64 s[46:47], s[10:11], s[48:49]
	s_mov_b32 s48, 0
	s_add_nc_u64 s[44:45], s[24:25], s[46:47]
	s_delay_alu instid0(SALU_CYCLE_1)
	s_add_nc_u64 s[46:47], s[44:45], s[50:51]
	s_lshl_b64 s[44:45], s[28:29], 27
	s_add_nc_u64 s[46:47], s[46:47], s[52:53]
.LBB36_5:                               ;   Parent Loop BB36_3 Depth=1
                                        ; =>  This Inner Loop Header: Depth=2
	s_delay_alu instid0(SALU_CYCLE_1) | instskip(SKIP_2) | instid1(VALU_DEP_2)
	v_mad_nc_i64_i32 v[10:11], v7, 20, s[46:47]
	v_bfe_u32 v0, v8, 1, 4
	v_add_nc_u64_e32 v[6:7], s[44:45], v[6:7]
	v_add_nc_u64_e32 v[12:13], v[10:11], v[0:1]
	v_and_or_b32 v0, 0xffffffe0, v8, v0
	v_add_nc_u64_e32 v[8:9], s[28:29], v[8:9]
	s_clause 0x1
	global_load_b32 v14, v[10:11], off
	global_load_u8 v15, v[12:13], off offset:4
	v_cmp_le_i64_e32 vcc_lo, s[20:21], v[8:9]
	s_or_b32 s48, vcc_lo, s48
	s_wait_loadcnt 0x0
	s_wait_xcnt 0x0
	v_dual_lshrrev_b32 v12, 16, v14 :: v_dual_bitop2_b32 v10, 15, v15 bitop3:0x40
	v_lshrrev_b32_e32 v11, 4, v15
	s_delay_alu instid0(VALU_DEP_2) | instskip(NEXT) | instid1(VALU_DEP_2)
	v_cvt_f32_ubyte0_e32 v10, v10
	v_cvt_f32_ubyte0_e32 v11, v11
	s_delay_alu instid0(VALU_DEP_2) | instskip(NEXT) | instid1(VALU_DEP_2)
	v_fma_mixlo_bf16 v10, v14, v10, v12
	v_fma_mixlo_bf16 v11, v14, v11, v12
	s_clause 0x1
	global_store_b16 v0, v10, s[42:43] scale_offset
	global_store_b16 v0, v11, s[42:43] offset:32 scale_offset
	s_wait_xcnt 0x0
	s_and_not1_b32 exec_lo, exec_lo, s48
	s_cbranch_execnz .LBB36_5
	s_branch .LBB36_2
.LBB36_6:
	s_endpgm
	.section	.rodata,"a",@progbits
	.p2align	6, 0x0
	.amdhsa_kernel _ZL10k_get_rowsILi32ELi2EXadL_ZL15dequantize_q4_1PKvliR15HIP_vector_typeIfLj2EEEE14__hip_bfloat16EvS1_PKiPT2_llS2_IjLj3EEmmmmmmmmm
		.amdhsa_group_segment_fixed_size 0
		.amdhsa_private_segment_fixed_size 0
		.amdhsa_kernarg_size 384
		.amdhsa_user_sgpr_count 2
		.amdhsa_user_sgpr_dispatch_ptr 0
		.amdhsa_user_sgpr_queue_ptr 0
		.amdhsa_user_sgpr_kernarg_segment_ptr 1
		.amdhsa_user_sgpr_dispatch_id 0
		.amdhsa_user_sgpr_kernarg_preload_length 0
		.amdhsa_user_sgpr_kernarg_preload_offset 0
		.amdhsa_user_sgpr_private_segment_size 0
		.amdhsa_wavefront_size32 1
		.amdhsa_uses_dynamic_stack 0
		.amdhsa_enable_private_segment 0
		.amdhsa_system_sgpr_workgroup_id_x 1
		.amdhsa_system_sgpr_workgroup_id_y 1
		.amdhsa_system_sgpr_workgroup_id_z 1
		.amdhsa_system_sgpr_workgroup_info 0
		.amdhsa_system_vgpr_workitem_id 0
		.amdhsa_next_free_vgpr 16
		.amdhsa_next_free_sgpr 54
		.amdhsa_named_barrier_count 0
		.amdhsa_reserve_vcc 1
		.amdhsa_float_round_mode_32 0
		.amdhsa_float_round_mode_16_64 0
		.amdhsa_float_denorm_mode_32 3
		.amdhsa_float_denorm_mode_16_64 3
		.amdhsa_fp16_overflow 0
		.amdhsa_memory_ordered 1
		.amdhsa_forward_progress 1
		.amdhsa_inst_pref_size 6
		.amdhsa_round_robin_scheduling 0
		.amdhsa_exception_fp_ieee_invalid_op 0
		.amdhsa_exception_fp_denorm_src 0
		.amdhsa_exception_fp_ieee_div_zero 0
		.amdhsa_exception_fp_ieee_overflow 0
		.amdhsa_exception_fp_ieee_underflow 0
		.amdhsa_exception_fp_ieee_inexact 0
		.amdhsa_exception_int_div_zero 0
	.end_amdhsa_kernel
	.section	.text._ZL10k_get_rowsILi32ELi2EXadL_ZL15dequantize_q4_1PKvliR15HIP_vector_typeIfLj2EEEE14__hip_bfloat16EvS1_PKiPT2_llS2_IjLj3EEmmmmmmmmm,"axG",@progbits,_ZL10k_get_rowsILi32ELi2EXadL_ZL15dequantize_q4_1PKvliR15HIP_vector_typeIfLj2EEEE14__hip_bfloat16EvS1_PKiPT2_llS2_IjLj3EEmmmmmmmmm,comdat
.Lfunc_end36:
	.size	_ZL10k_get_rowsILi32ELi2EXadL_ZL15dequantize_q4_1PKvliR15HIP_vector_typeIfLj2EEEE14__hip_bfloat16EvS1_PKiPT2_llS2_IjLj3EEmmmmmmmmm, .Lfunc_end36-_ZL10k_get_rowsILi32ELi2EXadL_ZL15dequantize_q4_1PKvliR15HIP_vector_typeIfLj2EEEE14__hip_bfloat16EvS1_PKiPT2_llS2_IjLj3EEmmmmmmmmm
                                        ; -- End function
	.set _ZL10k_get_rowsILi32ELi2EXadL_ZL15dequantize_q4_1PKvliR15HIP_vector_typeIfLj2EEEE14__hip_bfloat16EvS1_PKiPT2_llS2_IjLj3EEmmmmmmmmm.num_vgpr, 16
	.set _ZL10k_get_rowsILi32ELi2EXadL_ZL15dequantize_q4_1PKvliR15HIP_vector_typeIfLj2EEEE14__hip_bfloat16EvS1_PKiPT2_llS2_IjLj3EEmmmmmmmmm.num_agpr, 0
	.set _ZL10k_get_rowsILi32ELi2EXadL_ZL15dequantize_q4_1PKvliR15HIP_vector_typeIfLj2EEEE14__hip_bfloat16EvS1_PKiPT2_llS2_IjLj3EEmmmmmmmmm.numbered_sgpr, 54
	.set _ZL10k_get_rowsILi32ELi2EXadL_ZL15dequantize_q4_1PKvliR15HIP_vector_typeIfLj2EEEE14__hip_bfloat16EvS1_PKiPT2_llS2_IjLj3EEmmmmmmmmm.num_named_barrier, 0
	.set _ZL10k_get_rowsILi32ELi2EXadL_ZL15dequantize_q4_1PKvliR15HIP_vector_typeIfLj2EEEE14__hip_bfloat16EvS1_PKiPT2_llS2_IjLj3EEmmmmmmmmm.private_seg_size, 0
	.set _ZL10k_get_rowsILi32ELi2EXadL_ZL15dequantize_q4_1PKvliR15HIP_vector_typeIfLj2EEEE14__hip_bfloat16EvS1_PKiPT2_llS2_IjLj3EEmmmmmmmmm.uses_vcc, 1
	.set _ZL10k_get_rowsILi32ELi2EXadL_ZL15dequantize_q4_1PKvliR15HIP_vector_typeIfLj2EEEE14__hip_bfloat16EvS1_PKiPT2_llS2_IjLj3EEmmmmmmmmm.uses_flat_scratch, 0
	.set _ZL10k_get_rowsILi32ELi2EXadL_ZL15dequantize_q4_1PKvliR15HIP_vector_typeIfLj2EEEE14__hip_bfloat16EvS1_PKiPT2_llS2_IjLj3EEmmmmmmmmm.has_dyn_sized_stack, 0
	.set _ZL10k_get_rowsILi32ELi2EXadL_ZL15dequantize_q4_1PKvliR15HIP_vector_typeIfLj2EEEE14__hip_bfloat16EvS1_PKiPT2_llS2_IjLj3EEmmmmmmmmm.has_recursion, 0
	.set _ZL10k_get_rowsILi32ELi2EXadL_ZL15dequantize_q4_1PKvliR15HIP_vector_typeIfLj2EEEE14__hip_bfloat16EvS1_PKiPT2_llS2_IjLj3EEmmmmmmmmm.has_indirect_call, 0
	.section	.AMDGPU.csdata,"",@progbits
; Kernel info:
; codeLenInByte = 720
; TotalNumSgprs: 56
; NumVgprs: 16
; ScratchSize: 0
; MemoryBound: 0
; FloatMode: 240
; IeeeMode: 1
; LDSByteSize: 0 bytes/workgroup (compile time only)
; SGPRBlocks: 0
; VGPRBlocks: 0
; NumSGPRsForWavesPerEU: 56
; NumVGPRsForWavesPerEU: 16
; NamedBarCnt: 0
; Occupancy: 16
; WaveLimiterHint : 1
; COMPUTE_PGM_RSRC2:SCRATCH_EN: 0
; COMPUTE_PGM_RSRC2:USER_SGPR: 2
; COMPUTE_PGM_RSRC2:TRAP_HANDLER: 0
; COMPUTE_PGM_RSRC2:TGID_X_EN: 1
; COMPUTE_PGM_RSRC2:TGID_Y_EN: 1
; COMPUTE_PGM_RSRC2:TGID_Z_EN: 1
; COMPUTE_PGM_RSRC2:TIDIG_COMP_CNT: 0
	.section	.text._ZL10k_get_rowsILi32ELi2EXadL_ZL15dequantize_q5_0PKvliR15HIP_vector_typeIfLj2EEEE14__hip_bfloat16EvS1_PKiPT2_llS2_IjLj3EEmmmmmmmmm,"axG",@progbits,_ZL10k_get_rowsILi32ELi2EXadL_ZL15dequantize_q5_0PKvliR15HIP_vector_typeIfLj2EEEE14__hip_bfloat16EvS1_PKiPT2_llS2_IjLj3EEmmmmmmmmm,comdat
	.globl	_ZL10k_get_rowsILi32ELi2EXadL_ZL15dequantize_q5_0PKvliR15HIP_vector_typeIfLj2EEEE14__hip_bfloat16EvS1_PKiPT2_llS2_IjLj3EEmmmmmmmmm ; -- Begin function _ZL10k_get_rowsILi32ELi2EXadL_ZL15dequantize_q5_0PKvliR15HIP_vector_typeIfLj2EEEE14__hip_bfloat16EvS1_PKiPT2_llS2_IjLj3EEmmmmmmmmm
	.p2align	8
	.type	_ZL10k_get_rowsILi32ELi2EXadL_ZL15dequantize_q5_0PKvliR15HIP_vector_typeIfLj2EEEE14__hip_bfloat16EvS1_PKiPT2_llS2_IjLj3EEmmmmmmmmm,@function
_ZL10k_get_rowsILi32ELi2EXadL_ZL15dequantize_q5_0PKvliR15HIP_vector_typeIfLj2EEEE14__hip_bfloat16EvS1_PKiPT2_llS2_IjLj3EEmmmmmmmmm: ; @_ZL10k_get_rowsILi32ELi2EXadL_ZL15dequantize_q5_0PKvliR15HIP_vector_typeIfLj2EEEE14__hip_bfloat16EvS1_PKiPT2_llS2_IjLj3EEmmmmmmmmm
; %bb.0:
	s_clause 0x1
	s_load_b64 s[2:3], s[0:1], 0x2c
	s_load_b128 s[20:23], s[0:1], 0x18
	s_bfe_u32 s4, ttmp6, 0x40014
	s_lshr_b32 s6, ttmp7, 16
	s_add_co_i32 s4, s4, 1
	s_bfe_u32 s5, ttmp6, 0x40008
	s_mul_i32 s4, s6, s4
	s_mov_b32 s29, 0
	s_getreg_b32 s38, hwreg(HW_REG_IB_STS2, 6, 4)
	s_add_co_i32 s7, s5, s4
	s_cmp_eq_u32 s38, 0
	s_mov_b32 s5, s29
	s_cselect_b32 s28, s6, s7
	s_wait_kmcnt 0x0
	s_mov_b32 s4, s3
	s_delay_alu instid0(SALU_CYCLE_1) | instskip(NEXT) | instid1(SALU_CYCLE_1)
	s_mul_u64 s[22:23], s[22:23], s[4:5]
	v_cmp_le_i64_e64 s4, s[22:23], s[28:29]
	s_and_b32 vcc_lo, exec_lo, s4
	s_cbranch_vccnz .LBB37_6
; %bb.1:
	s_clause 0x5
	s_load_b64 s[30:31], s[0:1], 0x88
	s_load_b64 s[34:35], s[0:1], 0x78
	s_load_b128 s[24:27], s[0:1], 0x0
	s_load_b64 s[40:41], s[0:1], 0x10
	s_load_b32 s36, s[0:1], 0x28
	s_load_b512 s[4:19], s[0:1], 0x38
	s_bfe_u32 s39, ttmp6, 0x4000c
	s_bfe_u32 s43, ttmp6, 0x40010
	s_and_b32 s42, ttmp7, 0xffff
	s_add_co_i32 s39, s39, 1
	s_add_co_i32 s43, s43, 1
	s_and_b32 s33, ttmp6, 15
	s_bfe_u32 s44, ttmp6, 0x40004
	s_mul_i32 s39, ttmp9, s39
	s_mul_i32 s43, s42, s43
	s_add_co_i32 s39, s33, s39
	s_add_co_i32 s44, s44, s43
	v_mov_b32_e32 v1, 0
	s_mov_b32 s37, s29
	s_wait_kmcnt 0x0
	s_and_b32 s33, s31, 0xffff
	s_cmp_eq_u32 s38, 0
	s_cselect_b32 s31, s42, s44
	s_cselect_b32 s42, ttmp9, s39
	s_mul_i32 s31, s31, s33
	s_ashr_i32 s43, s42, 31
	v_add_lshl_u32 v0, s31, v0, 1
	s_add_nc_u64 s[38:39], s[0:1], 0x80
	s_mul_u64 s[0:1], s[16:17], s[42:43]
	s_mul_u64 s[16:17], s[4:5], s[42:43]
	s_lshl_b64 s[42:43], s[0:1], 2
	v_mov_b64_e32 v[2:3], v[0:1]
	v_cmp_gt_i64_e64 s0, s[20:21], v[0:1]
	v_lshlrev_b64_e32 v[4:5], 27, v[0:1]
	s_lshl_b64 s[44:45], s[16:17], 1
	s_mov_b64 s[4:5], 0xffffffff
	s_add_nc_u64 s[16:17], s[26:27], s[42:43]
	s_add_nc_u64 s[26:27], s[40:41], s[44:45]
	s_mov_b32 s31, s29
	s_mov_b64 s[40:41], s[28:29]
	s_branch .LBB37_3
.LBB37_2:                               ;   in Loop: Header=BB37_3 Depth=1
	s_or_b32 exec_lo, exec_lo, s1
	s_add_nc_u64 s[40:41], s[40:41], s[30:31]
	s_delay_alu instid0(SALU_CYCLE_1)
	v_cmp_ge_i64_e64 s1, s[40:41], s[22:23]
	s_and_b32 vcc_lo, exec_lo, s1
	s_cbranch_vccnz .LBB37_6
.LBB37_3:                               ; =>This Loop Header: Depth=1
                                        ;     Child Loop BB37_5 Depth 2
	s_and_saveexec_b32 s1, s0
	s_cbranch_execz .LBB37_2
; %bb.4:                                ;   in Loop: Header=BB37_3 Depth=1
	s_and_b64 s[42:43], s[40:41], s[4:5]
	v_mov_b64_e32 v[6:7], v[4:5]
	s_mul_u64 s[42:43], s[42:43], s[36:37]
	v_mov_b64_e32 v[8:9], v[2:3]
	s_add_co_i32 s28, s43, s40
	s_delay_alu instid0(SALU_CYCLE_1) | instskip(NEXT) | instid1(SALU_CYCLE_1)
	s_lshr_b32 s42, s28, s2
	s_mul_i32 s28, s42, s3
	s_ashr_i32 s43, s42, 31
	s_sub_co_i32 s44, s40, s28
	s_mul_u64 s[46:47], s[18:19], s[42:43]
	s_ashr_i32 s45, s44, 31
	s_lshl_b64 s[46:47], s[46:47], 2
	s_mul_u64 s[48:49], s[34:35], s[44:45]
	s_add_nc_u64 s[46:47], s[16:17], s[46:47]
	s_lshl_b64 s[48:49], s[48:49], 2
	s_mul_u64 s[50:51], s[12:13], s[42:43]
	s_add_nc_u64 s[46:47], s[46:47], s[48:49]
	s_mul_u64 s[52:53], s[14:15], s[44:45]
	s_load_b32 s48, s[46:47], 0x0
	s_load_b32 s28, s[38:39], 0x4
	s_wait_xcnt 0x0
	s_mul_u64 s[46:47], s[6:7], s[42:43]
	s_delay_alu instid0(SALU_CYCLE_1) | instskip(NEXT) | instid1(SALU_CYCLE_1)
	s_lshl_b64 s[46:47], s[46:47], 1
	s_add_nc_u64 s[42:43], s[26:27], s[46:47]
	s_mul_u64 s[46:47], s[8:9], s[44:45]
	s_delay_alu instid0(SALU_CYCLE_1) | instskip(NEXT) | instid1(SALU_CYCLE_1)
	s_lshl_b64 s[44:45], s[46:47], 1
	s_add_nc_u64 s[42:43], s[42:43], s[44:45]
	s_wait_kmcnt 0x0
	s_ashr_i32 s49, s48, 31
	s_mul_i32 s28, s28, s33
	s_mul_u64 s[46:47], s[10:11], s[48:49]
	s_mov_b32 s48, 0
	s_add_nc_u64 s[44:45], s[24:25], s[46:47]
	s_delay_alu instid0(SALU_CYCLE_1)
	s_add_nc_u64 s[46:47], s[44:45], s[50:51]
	s_lshl_b64 s[44:45], s[28:29], 27
	s_add_nc_u64 s[46:47], s[46:47], s[52:53]
.LBB37_5:                               ;   Parent Loop BB37_3 Depth=1
                                        ; =>  This Inner Loop Header: Depth=2
	s_delay_alu instid0(SALU_CYCLE_1) | instskip(SKIP_2) | instid1(VALU_DEP_2)
	v_mad_nc_i64_i32 v[10:11], v7, 22, s[46:47]
	v_bfe_u32 v0, v8, 1, 4
	v_add_nc_u64_e32 v[6:7], s[44:45], v[6:7]
	v_add_nc_u64_e32 v[12:13], v[10:11], v[0:1]
	s_clause 0x2
	global_load_b32 v14, v[10:11], off
	global_load_u16 v15, v[10:11], off offset:4
	global_load_u8 v16, v[12:13], off offset:6
	s_wait_loadcnt 0x1
	s_wait_xcnt 0x1
	v_perm_b32 v10, v14, v15, 0x1000706
	v_add_nc_u32_e32 v11, 12, v0
	s_wait_loadcnt 0x0
	s_wait_xcnt 0x0
	v_lshrrev_b16 v13, 4, v16
	s_delay_alu instid0(VALU_DEP_2) | instskip(SKIP_2) | instid1(VALU_DEP_3)
	v_dual_lshrrev_b32 v12, v0, v10 :: v_dual_lshrrev_b32 v10, v11, v10
	v_and_or_b32 v0, 0xffffffe0, v8, v0
	v_add_nc_u64_e32 v[8:9], s[28:29], v[8:9]
	v_dual_lshlrev_b32 v11, 4, v12 :: v_dual_bitop2_b32 v10, 16, v10 bitop3:0x40
	s_delay_alu instid0(VALU_DEP_2) | instskip(NEXT) | instid1(VALU_DEP_2)
	v_cmp_le_i64_e32 vcc_lo, s[20:21], v[8:9]
	v_and_b32_e32 v11, 16, v11
	v_or_b32_e32 v12, -16, v13
	v_or_b32_e32 v13, -16, v16
	s_or_b32 s48, vcc_lo, s48
	s_delay_alu instid0(VALU_DEP_1) | instskip(NEXT) | instid1(VALU_DEP_3)
	v_add_nc_u32_e32 v11, v13, v11
	v_bfe_i32 v12, v12, 0, 16
	s_delay_alu instid0(VALU_DEP_2) | instskip(NEXT) | instid1(VALU_DEP_2)
	v_cvt_f32_i32_e32 v11, v11
	v_add_nc_u32_e32 v10, v10, v12
	s_delay_alu instid0(VALU_DEP_2) | instskip(NEXT) | instid1(VALU_DEP_2)
	v_fma_mixlo_bf16 v11, v14, v11, 0
	v_cvt_f32_i32_e32 v10, v10
	s_delay_alu instid0(VALU_DEP_1)
	v_fma_mixlo_bf16 v10, v14, v10, 0
	s_clause 0x1
	global_store_b16 v0, v11, s[42:43] scale_offset
	global_store_b16 v0, v10, s[42:43] offset:32 scale_offset
	s_wait_xcnt 0x0
	s_and_not1_b32 exec_lo, exec_lo, s48
	s_cbranch_execnz .LBB37_5
	s_branch .LBB37_2
.LBB37_6:
	s_endpgm
	.section	.rodata,"a",@progbits
	.p2align	6, 0x0
	.amdhsa_kernel _ZL10k_get_rowsILi32ELi2EXadL_ZL15dequantize_q5_0PKvliR15HIP_vector_typeIfLj2EEEE14__hip_bfloat16EvS1_PKiPT2_llS2_IjLj3EEmmmmmmmmm
		.amdhsa_group_segment_fixed_size 0
		.amdhsa_private_segment_fixed_size 0
		.amdhsa_kernarg_size 384
		.amdhsa_user_sgpr_count 2
		.amdhsa_user_sgpr_dispatch_ptr 0
		.amdhsa_user_sgpr_queue_ptr 0
		.amdhsa_user_sgpr_kernarg_segment_ptr 1
		.amdhsa_user_sgpr_dispatch_id 0
		.amdhsa_user_sgpr_kernarg_preload_length 0
		.amdhsa_user_sgpr_kernarg_preload_offset 0
		.amdhsa_user_sgpr_private_segment_size 0
		.amdhsa_wavefront_size32 1
		.amdhsa_uses_dynamic_stack 0
		.amdhsa_enable_private_segment 0
		.amdhsa_system_sgpr_workgroup_id_x 1
		.amdhsa_system_sgpr_workgroup_id_y 1
		.amdhsa_system_sgpr_workgroup_id_z 1
		.amdhsa_system_sgpr_workgroup_info 0
		.amdhsa_system_vgpr_workitem_id 0
		.amdhsa_next_free_vgpr 17
		.amdhsa_next_free_sgpr 54
		.amdhsa_named_barrier_count 0
		.amdhsa_reserve_vcc 1
		.amdhsa_float_round_mode_32 0
		.amdhsa_float_round_mode_16_64 0
		.amdhsa_float_denorm_mode_32 3
		.amdhsa_float_denorm_mode_16_64 3
		.amdhsa_fp16_overflow 0
		.amdhsa_memory_ordered 1
		.amdhsa_forward_progress 1
		.amdhsa_inst_pref_size 7
		.amdhsa_round_robin_scheduling 0
		.amdhsa_exception_fp_ieee_invalid_op 0
		.amdhsa_exception_fp_denorm_src 0
		.amdhsa_exception_fp_ieee_div_zero 0
		.amdhsa_exception_fp_ieee_overflow 0
		.amdhsa_exception_fp_ieee_underflow 0
		.amdhsa_exception_fp_ieee_inexact 0
		.amdhsa_exception_int_div_zero 0
	.end_amdhsa_kernel
	.section	.text._ZL10k_get_rowsILi32ELi2EXadL_ZL15dequantize_q5_0PKvliR15HIP_vector_typeIfLj2EEEE14__hip_bfloat16EvS1_PKiPT2_llS2_IjLj3EEmmmmmmmmm,"axG",@progbits,_ZL10k_get_rowsILi32ELi2EXadL_ZL15dequantize_q5_0PKvliR15HIP_vector_typeIfLj2EEEE14__hip_bfloat16EvS1_PKiPT2_llS2_IjLj3EEmmmmmmmmm,comdat
.Lfunc_end37:
	.size	_ZL10k_get_rowsILi32ELi2EXadL_ZL15dequantize_q5_0PKvliR15HIP_vector_typeIfLj2EEEE14__hip_bfloat16EvS1_PKiPT2_llS2_IjLj3EEmmmmmmmmm, .Lfunc_end37-_ZL10k_get_rowsILi32ELi2EXadL_ZL15dequantize_q5_0PKvliR15HIP_vector_typeIfLj2EEEE14__hip_bfloat16EvS1_PKiPT2_llS2_IjLj3EEmmmmmmmmm
                                        ; -- End function
	.set _ZL10k_get_rowsILi32ELi2EXadL_ZL15dequantize_q5_0PKvliR15HIP_vector_typeIfLj2EEEE14__hip_bfloat16EvS1_PKiPT2_llS2_IjLj3EEmmmmmmmmm.num_vgpr, 17
	.set _ZL10k_get_rowsILi32ELi2EXadL_ZL15dequantize_q5_0PKvliR15HIP_vector_typeIfLj2EEEE14__hip_bfloat16EvS1_PKiPT2_llS2_IjLj3EEmmmmmmmmm.num_agpr, 0
	.set _ZL10k_get_rowsILi32ELi2EXadL_ZL15dequantize_q5_0PKvliR15HIP_vector_typeIfLj2EEEE14__hip_bfloat16EvS1_PKiPT2_llS2_IjLj3EEmmmmmmmmm.numbered_sgpr, 54
	.set _ZL10k_get_rowsILi32ELi2EXadL_ZL15dequantize_q5_0PKvliR15HIP_vector_typeIfLj2EEEE14__hip_bfloat16EvS1_PKiPT2_llS2_IjLj3EEmmmmmmmmm.num_named_barrier, 0
	.set _ZL10k_get_rowsILi32ELi2EXadL_ZL15dequantize_q5_0PKvliR15HIP_vector_typeIfLj2EEEE14__hip_bfloat16EvS1_PKiPT2_llS2_IjLj3EEmmmmmmmmm.private_seg_size, 0
	.set _ZL10k_get_rowsILi32ELi2EXadL_ZL15dequantize_q5_0PKvliR15HIP_vector_typeIfLj2EEEE14__hip_bfloat16EvS1_PKiPT2_llS2_IjLj3EEmmmmmmmmm.uses_vcc, 1
	.set _ZL10k_get_rowsILi32ELi2EXadL_ZL15dequantize_q5_0PKvliR15HIP_vector_typeIfLj2EEEE14__hip_bfloat16EvS1_PKiPT2_llS2_IjLj3EEmmmmmmmmm.uses_flat_scratch, 0
	.set _ZL10k_get_rowsILi32ELi2EXadL_ZL15dequantize_q5_0PKvliR15HIP_vector_typeIfLj2EEEE14__hip_bfloat16EvS1_PKiPT2_llS2_IjLj3EEmmmmmmmmm.has_dyn_sized_stack, 0
	.set _ZL10k_get_rowsILi32ELi2EXadL_ZL15dequantize_q5_0PKvliR15HIP_vector_typeIfLj2EEEE14__hip_bfloat16EvS1_PKiPT2_llS2_IjLj3EEmmmmmmmmm.has_recursion, 0
	.set _ZL10k_get_rowsILi32ELi2EXadL_ZL15dequantize_q5_0PKvliR15HIP_vector_typeIfLj2EEEE14__hip_bfloat16EvS1_PKiPT2_llS2_IjLj3EEmmmmmmmmm.has_indirect_call, 0
	.section	.AMDGPU.csdata,"",@progbits
; Kernel info:
; codeLenInByte = 816
; TotalNumSgprs: 56
; NumVgprs: 17
; ScratchSize: 0
; MemoryBound: 0
; FloatMode: 240
; IeeeMode: 1
; LDSByteSize: 0 bytes/workgroup (compile time only)
; SGPRBlocks: 0
; VGPRBlocks: 1
; NumSGPRsForWavesPerEU: 56
; NumVGPRsForWavesPerEU: 17
; NamedBarCnt: 0
; Occupancy: 16
; WaveLimiterHint : 1
; COMPUTE_PGM_RSRC2:SCRATCH_EN: 0
; COMPUTE_PGM_RSRC2:USER_SGPR: 2
; COMPUTE_PGM_RSRC2:TRAP_HANDLER: 0
; COMPUTE_PGM_RSRC2:TGID_X_EN: 1
; COMPUTE_PGM_RSRC2:TGID_Y_EN: 1
; COMPUTE_PGM_RSRC2:TGID_Z_EN: 1
; COMPUTE_PGM_RSRC2:TIDIG_COMP_CNT: 0
	.section	.text._ZL10k_get_rowsILi32ELi2EXadL_ZL15dequantize_q5_1PKvliR15HIP_vector_typeIfLj2EEEE14__hip_bfloat16EvS1_PKiPT2_llS2_IjLj3EEmmmmmmmmm,"axG",@progbits,_ZL10k_get_rowsILi32ELi2EXadL_ZL15dequantize_q5_1PKvliR15HIP_vector_typeIfLj2EEEE14__hip_bfloat16EvS1_PKiPT2_llS2_IjLj3EEmmmmmmmmm,comdat
	.globl	_ZL10k_get_rowsILi32ELi2EXadL_ZL15dequantize_q5_1PKvliR15HIP_vector_typeIfLj2EEEE14__hip_bfloat16EvS1_PKiPT2_llS2_IjLj3EEmmmmmmmmm ; -- Begin function _ZL10k_get_rowsILi32ELi2EXadL_ZL15dequantize_q5_1PKvliR15HIP_vector_typeIfLj2EEEE14__hip_bfloat16EvS1_PKiPT2_llS2_IjLj3EEmmmmmmmmm
	.p2align	8
	.type	_ZL10k_get_rowsILi32ELi2EXadL_ZL15dequantize_q5_1PKvliR15HIP_vector_typeIfLj2EEEE14__hip_bfloat16EvS1_PKiPT2_llS2_IjLj3EEmmmmmmmmm,@function
_ZL10k_get_rowsILi32ELi2EXadL_ZL15dequantize_q5_1PKvliR15HIP_vector_typeIfLj2EEEE14__hip_bfloat16EvS1_PKiPT2_llS2_IjLj3EEmmmmmmmmm: ; @_ZL10k_get_rowsILi32ELi2EXadL_ZL15dequantize_q5_1PKvliR15HIP_vector_typeIfLj2EEEE14__hip_bfloat16EvS1_PKiPT2_llS2_IjLj3EEmmmmmmmmm
; %bb.0:
	s_clause 0x1
	s_load_b64 s[2:3], s[0:1], 0x2c
	s_load_b128 s[20:23], s[0:1], 0x18
	s_bfe_u32 s4, ttmp6, 0x40014
	s_lshr_b32 s6, ttmp7, 16
	s_add_co_i32 s4, s4, 1
	s_bfe_u32 s5, ttmp6, 0x40008
	s_mul_i32 s4, s6, s4
	s_mov_b32 s29, 0
	s_getreg_b32 s38, hwreg(HW_REG_IB_STS2, 6, 4)
	s_add_co_i32 s7, s5, s4
	s_cmp_eq_u32 s38, 0
	s_mov_b32 s5, s29
	s_cselect_b32 s28, s6, s7
	s_wait_kmcnt 0x0
	s_mov_b32 s4, s3
	s_delay_alu instid0(SALU_CYCLE_1) | instskip(NEXT) | instid1(SALU_CYCLE_1)
	s_mul_u64 s[22:23], s[22:23], s[4:5]
	v_cmp_le_i64_e64 s4, s[22:23], s[28:29]
	s_and_b32 vcc_lo, exec_lo, s4
	s_cbranch_vccnz .LBB38_6
; %bb.1:
	s_clause 0x5
	s_load_b64 s[30:31], s[0:1], 0x88
	s_load_b64 s[34:35], s[0:1], 0x78
	s_load_b128 s[24:27], s[0:1], 0x0
	s_load_b64 s[40:41], s[0:1], 0x10
	s_load_b32 s36, s[0:1], 0x28
	s_load_b512 s[4:19], s[0:1], 0x38
	s_bfe_u32 s39, ttmp6, 0x4000c
	s_bfe_u32 s43, ttmp6, 0x40010
	s_and_b32 s42, ttmp7, 0xffff
	s_add_co_i32 s39, s39, 1
	s_add_co_i32 s43, s43, 1
	s_and_b32 s33, ttmp6, 15
	s_bfe_u32 s44, ttmp6, 0x40004
	s_mul_i32 s39, ttmp9, s39
	s_mul_i32 s43, s42, s43
	s_add_co_i32 s39, s33, s39
	s_add_co_i32 s44, s44, s43
	v_mov_b32_e32 v1, 0
	s_mov_b32 s37, s29
	s_wait_kmcnt 0x0
	s_and_b32 s33, s31, 0xffff
	s_cmp_eq_u32 s38, 0
	s_cselect_b32 s31, s42, s44
	s_cselect_b32 s42, ttmp9, s39
	s_mul_i32 s31, s31, s33
	s_ashr_i32 s43, s42, 31
	v_add_lshl_u32 v0, s31, v0, 1
	s_add_nc_u64 s[38:39], s[0:1], 0x80
	s_mul_u64 s[0:1], s[16:17], s[42:43]
	s_mul_u64 s[16:17], s[4:5], s[42:43]
	s_lshl_b64 s[42:43], s[0:1], 2
	v_mov_b64_e32 v[2:3], v[0:1]
	v_cmp_gt_i64_e64 s0, s[20:21], v[0:1]
	v_lshlrev_b64_e32 v[4:5], 27, v[0:1]
	s_lshl_b64 s[44:45], s[16:17], 1
	s_mov_b64 s[4:5], 0xffffffff
	s_add_nc_u64 s[16:17], s[26:27], s[42:43]
	s_add_nc_u64 s[26:27], s[40:41], s[44:45]
	s_mov_b32 s31, s29
	s_mov_b64 s[40:41], s[28:29]
	s_branch .LBB38_3
.LBB38_2:                               ;   in Loop: Header=BB38_3 Depth=1
	s_or_b32 exec_lo, exec_lo, s1
	s_add_nc_u64 s[40:41], s[40:41], s[30:31]
	s_delay_alu instid0(SALU_CYCLE_1)
	v_cmp_ge_i64_e64 s1, s[40:41], s[22:23]
	s_and_b32 vcc_lo, exec_lo, s1
	s_cbranch_vccnz .LBB38_6
.LBB38_3:                               ; =>This Loop Header: Depth=1
                                        ;     Child Loop BB38_5 Depth 2
	s_and_saveexec_b32 s1, s0
	s_cbranch_execz .LBB38_2
; %bb.4:                                ;   in Loop: Header=BB38_3 Depth=1
	s_and_b64 s[42:43], s[40:41], s[4:5]
	v_mov_b64_e32 v[6:7], v[4:5]
	s_mul_u64 s[42:43], s[42:43], s[36:37]
	v_mov_b64_e32 v[8:9], v[2:3]
	s_add_co_i32 s28, s43, s40
	s_delay_alu instid0(SALU_CYCLE_1) | instskip(NEXT) | instid1(SALU_CYCLE_1)
	s_lshr_b32 s42, s28, s2
	s_mul_i32 s28, s42, s3
	s_ashr_i32 s43, s42, 31
	s_sub_co_i32 s44, s40, s28
	s_mul_u64 s[46:47], s[18:19], s[42:43]
	s_ashr_i32 s45, s44, 31
	s_lshl_b64 s[46:47], s[46:47], 2
	s_mul_u64 s[48:49], s[34:35], s[44:45]
	s_add_nc_u64 s[46:47], s[16:17], s[46:47]
	s_lshl_b64 s[48:49], s[48:49], 2
	s_mul_u64 s[50:51], s[12:13], s[42:43]
	s_add_nc_u64 s[46:47], s[46:47], s[48:49]
	s_mul_u64 s[52:53], s[14:15], s[44:45]
	s_load_b32 s48, s[46:47], 0x0
	s_load_b32 s28, s[38:39], 0x4
	s_wait_xcnt 0x0
	s_mul_u64 s[46:47], s[6:7], s[42:43]
	s_delay_alu instid0(SALU_CYCLE_1) | instskip(NEXT) | instid1(SALU_CYCLE_1)
	s_lshl_b64 s[46:47], s[46:47], 1
	s_add_nc_u64 s[42:43], s[26:27], s[46:47]
	s_mul_u64 s[46:47], s[8:9], s[44:45]
	s_delay_alu instid0(SALU_CYCLE_1) | instskip(NEXT) | instid1(SALU_CYCLE_1)
	s_lshl_b64 s[44:45], s[46:47], 1
	s_add_nc_u64 s[42:43], s[42:43], s[44:45]
	s_wait_kmcnt 0x0
	s_ashr_i32 s49, s48, 31
	s_mul_i32 s28, s28, s33
	s_mul_u64 s[46:47], s[10:11], s[48:49]
	s_mov_b32 s48, 0
	s_add_nc_u64 s[44:45], s[24:25], s[46:47]
	s_delay_alu instid0(SALU_CYCLE_1)
	s_add_nc_u64 s[46:47], s[44:45], s[50:51]
	s_lshl_b64 s[44:45], s[28:29], 27
	s_add_nc_u64 s[46:47], s[46:47], s[52:53]
.LBB38_5:                               ;   Parent Loop BB38_3 Depth=1
                                        ; =>  This Inner Loop Header: Depth=2
	s_delay_alu instid0(SALU_CYCLE_1) | instskip(SKIP_2) | instid1(VALU_DEP_2)
	v_mad_nc_i64_i32 v[10:11], v7, 24, s[46:47]
	v_bfe_u32 v0, v8, 1, 4
	v_add_nc_u64_e32 v[6:7], s[44:45], v[6:7]
	v_add_nc_u64_e32 v[12:13], v[10:11], v[0:1]
	s_clause 0x1
	global_load_b64 v[14:15], v[10:11], off
	global_load_u8 v16, v[12:13], off offset:8
	s_wait_loadcnt 0x1
	s_wait_xcnt 0x1
	v_dual_add_nc_u32 v10, 12, v0 :: v_dual_lshrrev_b32 v11, v0, v15
	s_wait_loadcnt 0x0
	s_wait_xcnt 0x0
	s_delay_alu instid0(VALU_DEP_1) | instskip(SKIP_4) | instid1(VALU_DEP_4)
	v_dual_lshrrev_b32 v10, v10, v15 :: v_dual_bitop2_b32 v12, 15, v16 bitop3:0x40
	v_lshrrev_b16 v13, 4, v16
	v_and_or_b32 v0, 0xffffffe0, v8, v0
	v_lshlrev_b32_e32 v11, 4, v11
	v_add_nc_u64_e32 v[8:9], s[28:29], v[8:9]
	v_and_or_b32 v10, v10, 16, v13
	s_delay_alu instid0(VALU_DEP_3) | instskip(SKIP_1) | instid1(VALU_DEP_3)
	v_and_or_b32 v11, v11, 16, v12
	v_lshrrev_b32_e32 v12, 16, v14
	v_cvt_f32_ubyte0_e32 v10, v10
	v_cmp_le_i64_e32 vcc_lo, s[20:21], v[8:9]
	s_delay_alu instid0(VALU_DEP_4) | instskip(NEXT) | instid1(VALU_DEP_3)
	v_cvt_f32_ubyte0_e32 v11, v11
	v_fma_mixlo_bf16 v10, v14, v10, v12
	s_delay_alu instid0(VALU_DEP_2)
	v_fma_mixlo_bf16 v11, v14, v11, v12
	s_or_b32 s48, vcc_lo, s48
	s_clause 0x1
	global_store_b16 v0, v11, s[42:43] scale_offset
	global_store_b16 v0, v10, s[42:43] offset:32 scale_offset
	s_wait_xcnt 0x0
	s_and_not1_b32 exec_lo, exec_lo, s48
	s_cbranch_execnz .LBB38_5
	s_branch .LBB38_2
.LBB38_6:
	s_endpgm
	.section	.rodata,"a",@progbits
	.p2align	6, 0x0
	.amdhsa_kernel _ZL10k_get_rowsILi32ELi2EXadL_ZL15dequantize_q5_1PKvliR15HIP_vector_typeIfLj2EEEE14__hip_bfloat16EvS1_PKiPT2_llS2_IjLj3EEmmmmmmmmm
		.amdhsa_group_segment_fixed_size 0
		.amdhsa_private_segment_fixed_size 0
		.amdhsa_kernarg_size 384
		.amdhsa_user_sgpr_count 2
		.amdhsa_user_sgpr_dispatch_ptr 0
		.amdhsa_user_sgpr_queue_ptr 0
		.amdhsa_user_sgpr_kernarg_segment_ptr 1
		.amdhsa_user_sgpr_dispatch_id 0
		.amdhsa_user_sgpr_kernarg_preload_length 0
		.amdhsa_user_sgpr_kernarg_preload_offset 0
		.amdhsa_user_sgpr_private_segment_size 0
		.amdhsa_wavefront_size32 1
		.amdhsa_uses_dynamic_stack 0
		.amdhsa_enable_private_segment 0
		.amdhsa_system_sgpr_workgroup_id_x 1
		.amdhsa_system_sgpr_workgroup_id_y 1
		.amdhsa_system_sgpr_workgroup_id_z 1
		.amdhsa_system_sgpr_workgroup_info 0
		.amdhsa_system_vgpr_workitem_id 0
		.amdhsa_next_free_vgpr 17
		.amdhsa_next_free_sgpr 54
		.amdhsa_named_barrier_count 0
		.amdhsa_reserve_vcc 1
		.amdhsa_float_round_mode_32 0
		.amdhsa_float_round_mode_16_64 0
		.amdhsa_float_denorm_mode_32 3
		.amdhsa_float_denorm_mode_16_64 3
		.amdhsa_fp16_overflow 0
		.amdhsa_memory_ordered 1
		.amdhsa_forward_progress 1
		.amdhsa_inst_pref_size 7
		.amdhsa_round_robin_scheduling 0
		.amdhsa_exception_fp_ieee_invalid_op 0
		.amdhsa_exception_fp_denorm_src 0
		.amdhsa_exception_fp_ieee_div_zero 0
		.amdhsa_exception_fp_ieee_overflow 0
		.amdhsa_exception_fp_ieee_underflow 0
		.amdhsa_exception_fp_ieee_inexact 0
		.amdhsa_exception_int_div_zero 0
	.end_amdhsa_kernel
	.section	.text._ZL10k_get_rowsILi32ELi2EXadL_ZL15dequantize_q5_1PKvliR15HIP_vector_typeIfLj2EEEE14__hip_bfloat16EvS1_PKiPT2_llS2_IjLj3EEmmmmmmmmm,"axG",@progbits,_ZL10k_get_rowsILi32ELi2EXadL_ZL15dequantize_q5_1PKvliR15HIP_vector_typeIfLj2EEEE14__hip_bfloat16EvS1_PKiPT2_llS2_IjLj3EEmmmmmmmmm,comdat
.Lfunc_end38:
	.size	_ZL10k_get_rowsILi32ELi2EXadL_ZL15dequantize_q5_1PKvliR15HIP_vector_typeIfLj2EEEE14__hip_bfloat16EvS1_PKiPT2_llS2_IjLj3EEmmmmmmmmm, .Lfunc_end38-_ZL10k_get_rowsILi32ELi2EXadL_ZL15dequantize_q5_1PKvliR15HIP_vector_typeIfLj2EEEE14__hip_bfloat16EvS1_PKiPT2_llS2_IjLj3EEmmmmmmmmm
                                        ; -- End function
	.set _ZL10k_get_rowsILi32ELi2EXadL_ZL15dequantize_q5_1PKvliR15HIP_vector_typeIfLj2EEEE14__hip_bfloat16EvS1_PKiPT2_llS2_IjLj3EEmmmmmmmmm.num_vgpr, 17
	.set _ZL10k_get_rowsILi32ELi2EXadL_ZL15dequantize_q5_1PKvliR15HIP_vector_typeIfLj2EEEE14__hip_bfloat16EvS1_PKiPT2_llS2_IjLj3EEmmmmmmmmm.num_agpr, 0
	.set _ZL10k_get_rowsILi32ELi2EXadL_ZL15dequantize_q5_1PKvliR15HIP_vector_typeIfLj2EEEE14__hip_bfloat16EvS1_PKiPT2_llS2_IjLj3EEmmmmmmmmm.numbered_sgpr, 54
	.set _ZL10k_get_rowsILi32ELi2EXadL_ZL15dequantize_q5_1PKvliR15HIP_vector_typeIfLj2EEEE14__hip_bfloat16EvS1_PKiPT2_llS2_IjLj3EEmmmmmmmmm.num_named_barrier, 0
	.set _ZL10k_get_rowsILi32ELi2EXadL_ZL15dequantize_q5_1PKvliR15HIP_vector_typeIfLj2EEEE14__hip_bfloat16EvS1_PKiPT2_llS2_IjLj3EEmmmmmmmmm.private_seg_size, 0
	.set _ZL10k_get_rowsILi32ELi2EXadL_ZL15dequantize_q5_1PKvliR15HIP_vector_typeIfLj2EEEE14__hip_bfloat16EvS1_PKiPT2_llS2_IjLj3EEmmmmmmmmm.uses_vcc, 1
	.set _ZL10k_get_rowsILi32ELi2EXadL_ZL15dequantize_q5_1PKvliR15HIP_vector_typeIfLj2EEEE14__hip_bfloat16EvS1_PKiPT2_llS2_IjLj3EEmmmmmmmmm.uses_flat_scratch, 0
	.set _ZL10k_get_rowsILi32ELi2EXadL_ZL15dequantize_q5_1PKvliR15HIP_vector_typeIfLj2EEEE14__hip_bfloat16EvS1_PKiPT2_llS2_IjLj3EEmmmmmmmmm.has_dyn_sized_stack, 0
	.set _ZL10k_get_rowsILi32ELi2EXadL_ZL15dequantize_q5_1PKvliR15HIP_vector_typeIfLj2EEEE14__hip_bfloat16EvS1_PKiPT2_llS2_IjLj3EEmmmmmmmmm.has_recursion, 0
	.set _ZL10k_get_rowsILi32ELi2EXadL_ZL15dequantize_q5_1PKvliR15HIP_vector_typeIfLj2EEEE14__hip_bfloat16EvS1_PKiPT2_llS2_IjLj3EEmmmmmmmmm.has_indirect_call, 0
	.section	.AMDGPU.csdata,"",@progbits
; Kernel info:
; codeLenInByte = 776
; TotalNumSgprs: 56
; NumVgprs: 17
; ScratchSize: 0
; MemoryBound: 0
; FloatMode: 240
; IeeeMode: 1
; LDSByteSize: 0 bytes/workgroup (compile time only)
; SGPRBlocks: 0
; VGPRBlocks: 1
; NumSGPRsForWavesPerEU: 56
; NumVGPRsForWavesPerEU: 17
; NamedBarCnt: 0
; Occupancy: 16
; WaveLimiterHint : 1
; COMPUTE_PGM_RSRC2:SCRATCH_EN: 0
; COMPUTE_PGM_RSRC2:USER_SGPR: 2
; COMPUTE_PGM_RSRC2:TRAP_HANDLER: 0
; COMPUTE_PGM_RSRC2:TGID_X_EN: 1
; COMPUTE_PGM_RSRC2:TGID_Y_EN: 1
; COMPUTE_PGM_RSRC2:TGID_Z_EN: 1
; COMPUTE_PGM_RSRC2:TIDIG_COMP_CNT: 0
	.section	.text._ZL10k_get_rowsILi32ELi1EXadL_ZL15dequantize_q8_0PKvliR15HIP_vector_typeIfLj2EEEE14__hip_bfloat16EvS1_PKiPT2_llS2_IjLj3EEmmmmmmmmm,"axG",@progbits,_ZL10k_get_rowsILi32ELi1EXadL_ZL15dequantize_q8_0PKvliR15HIP_vector_typeIfLj2EEEE14__hip_bfloat16EvS1_PKiPT2_llS2_IjLj3EEmmmmmmmmm,comdat
	.globl	_ZL10k_get_rowsILi32ELi1EXadL_ZL15dequantize_q8_0PKvliR15HIP_vector_typeIfLj2EEEE14__hip_bfloat16EvS1_PKiPT2_llS2_IjLj3EEmmmmmmmmm ; -- Begin function _ZL10k_get_rowsILi32ELi1EXadL_ZL15dequantize_q8_0PKvliR15HIP_vector_typeIfLj2EEEE14__hip_bfloat16EvS1_PKiPT2_llS2_IjLj3EEmmmmmmmmm
	.p2align	8
	.type	_ZL10k_get_rowsILi32ELi1EXadL_ZL15dequantize_q8_0PKvliR15HIP_vector_typeIfLj2EEEE14__hip_bfloat16EvS1_PKiPT2_llS2_IjLj3EEmmmmmmmmm,@function
_ZL10k_get_rowsILi32ELi1EXadL_ZL15dequantize_q8_0PKvliR15HIP_vector_typeIfLj2EEEE14__hip_bfloat16EvS1_PKiPT2_llS2_IjLj3EEmmmmmmmmm: ; @_ZL10k_get_rowsILi32ELi1EXadL_ZL15dequantize_q8_0PKvliR15HIP_vector_typeIfLj2EEEE14__hip_bfloat16EvS1_PKiPT2_llS2_IjLj3EEmmmmmmmmm
; %bb.0:
	s_clause 0x1
	s_load_b64 s[2:3], s[0:1], 0x2c
	s_load_b128 s[20:23], s[0:1], 0x18
	s_bfe_u32 s4, ttmp6, 0x40014
	s_lshr_b32 s6, ttmp7, 16
	s_add_co_i32 s4, s4, 1
	s_bfe_u32 s5, ttmp6, 0x40008
	s_mul_i32 s4, s6, s4
	s_mov_b32 s29, 0
	s_getreg_b32 s38, hwreg(HW_REG_IB_STS2, 6, 4)
	s_add_co_i32 s7, s5, s4
	s_cmp_eq_u32 s38, 0
	s_mov_b32 s5, s29
	s_cselect_b32 s28, s6, s7
	s_wait_kmcnt 0x0
	s_mov_b32 s4, s3
	s_delay_alu instid0(SALU_CYCLE_1) | instskip(NEXT) | instid1(SALU_CYCLE_1)
	s_mul_u64 s[22:23], s[22:23], s[4:5]
	v_cmp_le_i64_e64 s4, s[22:23], s[28:29]
	s_and_b32 vcc_lo, exec_lo, s4
	s_cbranch_vccnz .LBB39_6
; %bb.1:
	s_clause 0x5
	s_load_b64 s[30:31], s[0:1], 0x88
	s_load_b64 s[34:35], s[0:1], 0x78
	s_load_b128 s[24:27], s[0:1], 0x0
	s_load_b64 s[40:41], s[0:1], 0x10
	s_load_b32 s36, s[0:1], 0x28
	s_load_b512 s[4:19], s[0:1], 0x38
	s_bfe_u32 s39, ttmp6, 0x4000c
	s_bfe_u32 s43, ttmp6, 0x40010
	s_and_b32 s42, ttmp7, 0xffff
	s_add_co_i32 s39, s39, 1
	s_add_co_i32 s43, s43, 1
	s_and_b32 s33, ttmp6, 15
	s_bfe_u32 s44, ttmp6, 0x40004
	s_mul_i32 s39, ttmp9, s39
	s_mul_i32 s43, s42, s43
	s_add_co_i32 s39, s33, s39
	s_add_co_i32 s44, s44, s43
	s_mov_b32 s37, s29
	s_wait_kmcnt 0x0
	s_and_b32 s33, s31, 0xffff
	s_cmp_eq_u32 s38, 0
	s_cselect_b32 s31, s42, s44
	s_cselect_b32 s38, ttmp9, s39
	s_mul_i32 s31, s31, s33
	s_ashr_i32 s39, s38, 31
	v_add_lshl_u32 v0, s31, v0, 1
	v_mov_b32_e32 v1, 0
	s_mul_u64 s[42:43], s[16:17], s[38:39]
	s_add_nc_u64 s[16:17], s[0:1], 0x80
	s_lshl_b64 s[0:1], s[42:43], 2
	s_mul_u64 s[38:39], s[4:5], s[38:39]
	s_add_nc_u64 s[4:5], s[26:27], s[0:1]
	v_mov_b32_e32 v7, v0
	v_mov_b64_e32 v[2:3], v[0:1]
	v_cmp_gt_i64_e64 s0, s[20:21], v[0:1]
	v_lshlrev_b64_e32 v[4:5], 27, v[0:1]
	v_mov_b32_e32 v6, v1
	s_lshl_b64 s[38:39], s[38:39], 1
	s_mov_b64 s[26:27], 0xffffffff
	s_add_nc_u64 s[38:39], s[40:41], s[38:39]
	s_mov_b32 s31, s29
	s_mov_b64 s[40:41], s[28:29]
	s_branch .LBB39_3
.LBB39_2:                               ;   in Loop: Header=BB39_3 Depth=1
	s_or_b32 exec_lo, exec_lo, s1
	s_add_nc_u64 s[40:41], s[40:41], s[30:31]
	s_delay_alu instid0(SALU_CYCLE_1)
	v_cmp_ge_i64_e64 s1, s[40:41], s[22:23]
	s_and_b32 vcc_lo, exec_lo, s1
	s_cbranch_vccnz .LBB39_6
.LBB39_3:                               ; =>This Loop Header: Depth=1
                                        ;     Child Loop BB39_5 Depth 2
	s_and_saveexec_b32 s1, s0
	s_cbranch_execz .LBB39_2
; %bb.4:                                ;   in Loop: Header=BB39_3 Depth=1
	s_and_b64 s[42:43], s[40:41], s[26:27]
	v_mov_b64_e32 v[8:9], v[6:7]
	s_mul_u64 s[42:43], s[42:43], s[36:37]
	v_mov_b64_e32 v[10:11], v[4:5]
	s_add_co_i32 s28, s43, s40
	v_mov_b64_e32 v[12:13], v[2:3]
	s_lshr_b32 s44, s28, s2
	s_delay_alu instid0(SALU_CYCLE_1)
	s_mul_i32 s28, s44, s3
	s_ashr_i32 s45, s44, 31
	s_sub_co_i32 s46, s40, s28
	s_mul_u64 s[42:43], s[18:19], s[44:45]
	s_ashr_i32 s47, s46, 31
	s_lshl_b64 s[42:43], s[42:43], 2
	s_mul_u64 s[48:49], s[34:35], s[46:47]
	s_add_nc_u64 s[42:43], s[4:5], s[42:43]
	s_lshl_b64 s[48:49], s[48:49], 2
	s_mul_u64 s[50:51], s[6:7], s[44:45]
	s_add_nc_u64 s[42:43], s[42:43], s[48:49]
	s_lshl_b64 s[50:51], s[50:51], 1
	s_load_b32 s48, s[42:43], 0x0
	s_load_b32 s28, s[16:17], 0x4
	s_mul_u64 s[52:53], s[12:13], s[44:45]
	s_add_nc_u64 s[44:45], s[38:39], s[50:51]
	s_mul_u64 s[50:51], s[8:9], s[46:47]
	s_mul_u64 s[54:55], s[14:15], s[46:47]
	s_lshl_b64 s[46:47], s[50:51], 1
	s_wait_xcnt 0x0
	s_mov_b32 s42, 0
	s_add_nc_u64 s[44:45], s[44:45], s[46:47]
	s_mov_b32 s50, s42
	s_wait_kmcnt 0x0
	s_ashr_i32 s49, s48, 31
	s_mul_i32 s28, s28, s33
	s_mul_u64 s[46:47], s[10:11], s[48:49]
	s_mov_b32 s43, s28
	s_add_nc_u64 s[48:49], s[24:25], s[46:47]
	s_lshl_b64 s[46:47], s[28:29], 27
	s_add_nc_u64 s[48:49], s[48:49], s[52:53]
	s_delay_alu instid0(SALU_CYCLE_1)
	s_add_nc_u64 s[48:49], s[48:49], s[54:55]
.LBB39_5:                               ;   Parent Loop BB39_3 Depth=1
                                        ; =>  This Inner Loop Header: Depth=2
	s_delay_alu instid0(SALU_CYCLE_1) | instskip(SKIP_3) | instid1(VALU_DEP_2)
	v_mad_nc_i64_i32 v[14:15], v11, 34, s[48:49]
	v_and_b32_e32 v0, 31, v12
	v_add_nc_u64_e32 v[12:13], s[28:29], v[12:13]
	v_add_nc_u64_e32 v[10:11], s[46:47], v[10:11]
	v_cmp_le_i64_e32 vcc_lo, s[20:21], v[12:13]
	s_delay_alu instid0(VALU_DEP_4)
	v_add_nc_u64_e32 v[16:17], v[14:15], v[0:1]
	s_clause 0x1
	global_load_u16 v0, v[14:15], off
	global_load_u16 v18, v[16:17], off offset:2
	s_or_b32 s50, vcc_lo, s50
	s_wait_loadcnt 0x1
	v_cvt_f32_f16_e32 v0, v0
	s_wait_loadcnt 0x0
	s_wait_xcnt 0x1
	v_ashrrev_i16 v14, 8, v18
	v_bfe_i32 v15, v18, 0, 8
	s_delay_alu instid0(VALU_DEP_2) | instskip(SKIP_1) | instid1(VALU_DEP_2)
	v_bfe_i32 v14, v14, 0, 16
	s_wait_xcnt 0x0
	v_bfe_i32 v16, v15, 0, 16
	s_delay_alu instid0(VALU_DEP_2) | instskip(NEXT) | instid1(VALU_DEP_2)
	v_cvt_f32_i32_e32 v15, v14
	v_cvt_f32_i32_e32 v14, v16
	v_ashrrev_i64 v[16:17], 31, v[8:9]
	v_add_nc_u64_e32 v[8:9], s[42:43], v[8:9]
	s_delay_alu instid0(VALU_DEP_3) | instskip(NEXT) | instid1(VALU_DEP_3)
	v_pk_mul_f32 v[14:15], v[0:1], v[14:15] op_sel_hi:[0,1]
	v_add_nc_u64_e32 v[16:17], s[44:45], v[16:17]
	s_delay_alu instid0(VALU_DEP_2)
	v_cvt_pk_bf16_f32 v0, v14, v15
	global_store_b32 v[16:17], v0, off
	s_wait_xcnt 0x0
	s_and_not1_b32 exec_lo, exec_lo, s50
	s_cbranch_execnz .LBB39_5
	s_branch .LBB39_2
.LBB39_6:
	s_endpgm
	.section	.rodata,"a",@progbits
	.p2align	6, 0x0
	.amdhsa_kernel _ZL10k_get_rowsILi32ELi1EXadL_ZL15dequantize_q8_0PKvliR15HIP_vector_typeIfLj2EEEE14__hip_bfloat16EvS1_PKiPT2_llS2_IjLj3EEmmmmmmmmm
		.amdhsa_group_segment_fixed_size 0
		.amdhsa_private_segment_fixed_size 0
		.amdhsa_kernarg_size 384
		.amdhsa_user_sgpr_count 2
		.amdhsa_user_sgpr_dispatch_ptr 0
		.amdhsa_user_sgpr_queue_ptr 0
		.amdhsa_user_sgpr_kernarg_segment_ptr 1
		.amdhsa_user_sgpr_dispatch_id 0
		.amdhsa_user_sgpr_kernarg_preload_length 0
		.amdhsa_user_sgpr_kernarg_preload_offset 0
		.amdhsa_user_sgpr_private_segment_size 0
		.amdhsa_wavefront_size32 1
		.amdhsa_uses_dynamic_stack 0
		.amdhsa_enable_private_segment 0
		.amdhsa_system_sgpr_workgroup_id_x 1
		.amdhsa_system_sgpr_workgroup_id_y 1
		.amdhsa_system_sgpr_workgroup_id_z 1
		.amdhsa_system_sgpr_workgroup_info 0
		.amdhsa_system_vgpr_workitem_id 0
		.amdhsa_next_free_vgpr 19
		.amdhsa_next_free_sgpr 56
		.amdhsa_named_barrier_count 0
		.amdhsa_reserve_vcc 1
		.amdhsa_float_round_mode_32 0
		.amdhsa_float_round_mode_16_64 0
		.amdhsa_float_denorm_mode_32 3
		.amdhsa_float_denorm_mode_16_64 3
		.amdhsa_fp16_overflow 0
		.amdhsa_memory_ordered 1
		.amdhsa_forward_progress 1
		.amdhsa_inst_pref_size 6
		.amdhsa_round_robin_scheduling 0
		.amdhsa_exception_fp_ieee_invalid_op 0
		.amdhsa_exception_fp_denorm_src 0
		.amdhsa_exception_fp_ieee_div_zero 0
		.amdhsa_exception_fp_ieee_overflow 0
		.amdhsa_exception_fp_ieee_underflow 0
		.amdhsa_exception_fp_ieee_inexact 0
		.amdhsa_exception_int_div_zero 0
	.end_amdhsa_kernel
	.section	.text._ZL10k_get_rowsILi32ELi1EXadL_ZL15dequantize_q8_0PKvliR15HIP_vector_typeIfLj2EEEE14__hip_bfloat16EvS1_PKiPT2_llS2_IjLj3EEmmmmmmmmm,"axG",@progbits,_ZL10k_get_rowsILi32ELi1EXadL_ZL15dequantize_q8_0PKvliR15HIP_vector_typeIfLj2EEEE14__hip_bfloat16EvS1_PKiPT2_llS2_IjLj3EEmmmmmmmmm,comdat
.Lfunc_end39:
	.size	_ZL10k_get_rowsILi32ELi1EXadL_ZL15dequantize_q8_0PKvliR15HIP_vector_typeIfLj2EEEE14__hip_bfloat16EvS1_PKiPT2_llS2_IjLj3EEmmmmmmmmm, .Lfunc_end39-_ZL10k_get_rowsILi32ELi1EXadL_ZL15dequantize_q8_0PKvliR15HIP_vector_typeIfLj2EEEE14__hip_bfloat16EvS1_PKiPT2_llS2_IjLj3EEmmmmmmmmm
                                        ; -- End function
	.set _ZL10k_get_rowsILi32ELi1EXadL_ZL15dequantize_q8_0PKvliR15HIP_vector_typeIfLj2EEEE14__hip_bfloat16EvS1_PKiPT2_llS2_IjLj3EEmmmmmmmmm.num_vgpr, 19
	.set _ZL10k_get_rowsILi32ELi1EXadL_ZL15dequantize_q8_0PKvliR15HIP_vector_typeIfLj2EEEE14__hip_bfloat16EvS1_PKiPT2_llS2_IjLj3EEmmmmmmmmm.num_agpr, 0
	.set _ZL10k_get_rowsILi32ELi1EXadL_ZL15dequantize_q8_0PKvliR15HIP_vector_typeIfLj2EEEE14__hip_bfloat16EvS1_PKiPT2_llS2_IjLj3EEmmmmmmmmm.numbered_sgpr, 56
	.set _ZL10k_get_rowsILi32ELi1EXadL_ZL15dequantize_q8_0PKvliR15HIP_vector_typeIfLj2EEEE14__hip_bfloat16EvS1_PKiPT2_llS2_IjLj3EEmmmmmmmmm.num_named_barrier, 0
	.set _ZL10k_get_rowsILi32ELi1EXadL_ZL15dequantize_q8_0PKvliR15HIP_vector_typeIfLj2EEEE14__hip_bfloat16EvS1_PKiPT2_llS2_IjLj3EEmmmmmmmmm.private_seg_size, 0
	.set _ZL10k_get_rowsILi32ELi1EXadL_ZL15dequantize_q8_0PKvliR15HIP_vector_typeIfLj2EEEE14__hip_bfloat16EvS1_PKiPT2_llS2_IjLj3EEmmmmmmmmm.uses_vcc, 1
	.set _ZL10k_get_rowsILi32ELi1EXadL_ZL15dequantize_q8_0PKvliR15HIP_vector_typeIfLj2EEEE14__hip_bfloat16EvS1_PKiPT2_llS2_IjLj3EEmmmmmmmmm.uses_flat_scratch, 0
	.set _ZL10k_get_rowsILi32ELi1EXadL_ZL15dequantize_q8_0PKvliR15HIP_vector_typeIfLj2EEEE14__hip_bfloat16EvS1_PKiPT2_llS2_IjLj3EEmmmmmmmmm.has_dyn_sized_stack, 0
	.set _ZL10k_get_rowsILi32ELi1EXadL_ZL15dequantize_q8_0PKvliR15HIP_vector_typeIfLj2EEEE14__hip_bfloat16EvS1_PKiPT2_llS2_IjLj3EEmmmmmmmmm.has_recursion, 0
	.set _ZL10k_get_rowsILi32ELi1EXadL_ZL15dequantize_q8_0PKvliR15HIP_vector_typeIfLj2EEEE14__hip_bfloat16EvS1_PKiPT2_llS2_IjLj3EEmmmmmmmmm.has_indirect_call, 0
	.section	.AMDGPU.csdata,"",@progbits
; Kernel info:
; codeLenInByte = 756
; TotalNumSgprs: 58
; NumVgprs: 19
; ScratchSize: 0
; MemoryBound: 0
; FloatMode: 240
; IeeeMode: 1
; LDSByteSize: 0 bytes/workgroup (compile time only)
; SGPRBlocks: 0
; VGPRBlocks: 1
; NumSGPRsForWavesPerEU: 58
; NumVGPRsForWavesPerEU: 19
; NamedBarCnt: 0
; Occupancy: 16
; WaveLimiterHint : 1
; COMPUTE_PGM_RSRC2:SCRATCH_EN: 0
; COMPUTE_PGM_RSRC2:USER_SGPR: 2
; COMPUTE_PGM_RSRC2:TRAP_HANDLER: 0
; COMPUTE_PGM_RSRC2:TGID_X_EN: 1
; COMPUTE_PGM_RSRC2:TGID_Y_EN: 1
; COMPUTE_PGM_RSRC2:TGID_Z_EN: 1
; COMPUTE_PGM_RSRC2:TIDIG_COMP_CNT: 0
	.section	.text._ZL21k_get_rows_back_floatIffEvPKT_PKiPT0_ll,"axG",@progbits,_ZL21k_get_rows_back_floatIffEvPKT_PKiPT0_ll,comdat
	.globl	_ZL21k_get_rows_back_floatIffEvPKT_PKiPT0_ll ; -- Begin function _ZL21k_get_rows_back_floatIffEvPKT_PKiPT0_ll
	.p2align	8
	.type	_ZL21k_get_rows_back_floatIffEvPKT_PKiPT0_ll,@function
_ZL21k_get_rows_back_floatIffEvPKT_PKiPT0_ll: ; @_ZL21k_get_rows_back_floatIffEvPKT_PKiPT0_ll
; %bb.0:
	s_clause 0x1
	s_load_b32 s3, s[0:1], 0x34
	s_load_b128 s[4:7], s[0:1], 0x18
	s_bfe_u32 s2, ttmp6, 0x4000c
	s_and_b32 s8, ttmp6, 15
	s_add_co_i32 s2, s2, 1
	v_and_b32_e32 v1, 0x3ff, v0
	s_mul_i32 s9, ttmp9, s2
	s_getreg_b32 s2, hwreg(HW_REG_IB_STS2, 6, 4)
	s_add_co_i32 s8, s8, s9
	s_wait_kmcnt 0x0
	s_and_b32 s3, s3, 0xffff
	s_cmp_eq_u32 s2, 0
	s_cselect_b32 s8, ttmp9, s8
	s_delay_alu instid0(SALU_CYCLE_1) | instskip(SKIP_1) | instid1(VALU_DEP_1)
	v_mad_u32 v2, s8, s3, v1
	s_mov_b32 s3, exec_lo
	v_ashrrev_i32_e32 v3, 31, v2
	s_delay_alu instid0(VALU_DEP_1)
	v_cmpx_gt_i64_e64 s[4:5], v[2:3]
	s_cbranch_execz .LBB40_8
; %bb.1:
	s_add_nc_u64 s[8:9], s[0:1], 40
	v_bfe_u32 v0, v0, 10, 10
	s_load_u16 s3, s[8:9], 0xe
	s_wait_xcnt 0x0
	s_bfe_u32 s8, ttmp6, 0x40010
	s_bfe_u32 s9, ttmp6, 0x40004
	s_add_co_i32 s8, s8, 1
	s_delay_alu instid0(SALU_CYCLE_1) | instskip(NEXT) | instid1(SALU_CYCLE_1)
	s_mul_i32 s8, ttmp7, s8
	s_add_co_i32 s9, s9, s8
	s_cmp_eq_u32 s2, 0
	v_cmp_lt_i64_e64 s8, s[6:7], 1
	s_cselect_b32 s2, ttmp7, s9
	s_and_b32 vcc_lo, exec_lo, s8
	s_wait_kmcnt 0x0
	v_mad_u32 v0, s2, s3, v0
	s_cbranch_vccnz .LBB40_6
; %bb.2:
	s_load_b128 s[8:11], s[0:1], 0x0
	v_mov_b32_e32 v6, 0
	s_lshl_b64 s[2:3], s[4:5], 2
	s_wait_kmcnt 0x0
	v_lshl_add_u64 v[4:5], v[2:3], 2, s[8:9]
	s_branch .LBB40_4
.LBB40_3:                               ;   in Loop: Header=BB40_4 Depth=1
	s_or_b32 exec_lo, exec_lo, s8
	v_add_nc_u64_e32 v[4:5], s[2:3], v[4:5]
	s_add_nc_u64 s[6:7], s[6:7], -1
	s_add_nc_u64 s[10:11], s[10:11], 4
	s_cmp_eq_u64 s[6:7], 0
	s_cbranch_scc1 .LBB40_7
.LBB40_4:                               ; =>This Inner Loop Header: Depth=1
	s_load_b32 s8, s[10:11], 0x0
	s_wait_kmcnt 0x0
	s_delay_alu instid0(VALU_DEP_3)
	v_cmp_eq_u32_e32 vcc_lo, s8, v0
	s_and_saveexec_b32 s8, vcc_lo
	s_cbranch_execz .LBB40_3
; %bb.5:                                ;   in Loop: Header=BB40_4 Depth=1
	global_load_b32 v1, v[4:5], off
	s_wait_loadcnt 0x0
	v_add_f32_e32 v6, v6, v1
	s_branch .LBB40_3
.LBB40_6:
	v_mov_b32_e32 v6, 0
.LBB40_7:
	s_delay_alu instid0(VALU_DEP_2) | instskip(SKIP_1) | instid1(VALU_DEP_1)
	v_ashrrev_i32_e32 v1, 31, v0
	s_load_b64 s[0:1], s[0:1], 0x10
	v_mul_u64_e32 v[0:1], s[4:5], v[0:1]
	s_wait_kmcnt 0x0
	s_delay_alu instid0(VALU_DEP_1) | instskip(NEXT) | instid1(VALU_DEP_1)
	v_lshl_add_u64 v[0:1], v[0:1], 2, s[0:1]
	v_lshl_add_u64 v[0:1], v[2:3], 2, v[0:1]
	global_store_b32 v[0:1], v6, off
.LBB40_8:
	s_endpgm
	.section	.rodata,"a",@progbits
	.p2align	6, 0x0
	.amdhsa_kernel _ZL21k_get_rows_back_floatIffEvPKT_PKiPT0_ll
		.amdhsa_group_segment_fixed_size 0
		.amdhsa_private_segment_fixed_size 0
		.amdhsa_kernarg_size 296
		.amdhsa_user_sgpr_count 2
		.amdhsa_user_sgpr_dispatch_ptr 0
		.amdhsa_user_sgpr_queue_ptr 0
		.amdhsa_user_sgpr_kernarg_segment_ptr 1
		.amdhsa_user_sgpr_dispatch_id 0
		.amdhsa_user_sgpr_kernarg_preload_length 0
		.amdhsa_user_sgpr_kernarg_preload_offset 0
		.amdhsa_user_sgpr_private_segment_size 0
		.amdhsa_wavefront_size32 1
		.amdhsa_uses_dynamic_stack 0
		.amdhsa_enable_private_segment 0
		.amdhsa_system_sgpr_workgroup_id_x 1
		.amdhsa_system_sgpr_workgroup_id_y 1
		.amdhsa_system_sgpr_workgroup_id_z 0
		.amdhsa_system_sgpr_workgroup_info 0
		.amdhsa_system_vgpr_workitem_id 1
		.amdhsa_next_free_vgpr 7
		.amdhsa_next_free_sgpr 12
		.amdhsa_named_barrier_count 0
		.amdhsa_reserve_vcc 1
		.amdhsa_float_round_mode_32 0
		.amdhsa_float_round_mode_16_64 0
		.amdhsa_float_denorm_mode_32 3
		.amdhsa_float_denorm_mode_16_64 3
		.amdhsa_fp16_overflow 0
		.amdhsa_memory_ordered 1
		.amdhsa_forward_progress 1
		.amdhsa_inst_pref_size 3
		.amdhsa_round_robin_scheduling 0
		.amdhsa_exception_fp_ieee_invalid_op 0
		.amdhsa_exception_fp_denorm_src 0
		.amdhsa_exception_fp_ieee_div_zero 0
		.amdhsa_exception_fp_ieee_overflow 0
		.amdhsa_exception_fp_ieee_underflow 0
		.amdhsa_exception_fp_ieee_inexact 0
		.amdhsa_exception_int_div_zero 0
	.end_amdhsa_kernel
	.section	.text._ZL21k_get_rows_back_floatIffEvPKT_PKiPT0_ll,"axG",@progbits,_ZL21k_get_rows_back_floatIffEvPKT_PKiPT0_ll,comdat
.Lfunc_end40:
	.size	_ZL21k_get_rows_back_floatIffEvPKT_PKiPT0_ll, .Lfunc_end40-_ZL21k_get_rows_back_floatIffEvPKT_PKiPT0_ll
                                        ; -- End function
	.set _ZL21k_get_rows_back_floatIffEvPKT_PKiPT0_ll.num_vgpr, 7
	.set _ZL21k_get_rows_back_floatIffEvPKT_PKiPT0_ll.num_agpr, 0
	.set _ZL21k_get_rows_back_floatIffEvPKT_PKiPT0_ll.numbered_sgpr, 12
	.set _ZL21k_get_rows_back_floatIffEvPKT_PKiPT0_ll.num_named_barrier, 0
	.set _ZL21k_get_rows_back_floatIffEvPKT_PKiPT0_ll.private_seg_size, 0
	.set _ZL21k_get_rows_back_floatIffEvPKT_PKiPT0_ll.uses_vcc, 1
	.set _ZL21k_get_rows_back_floatIffEvPKT_PKiPT0_ll.uses_flat_scratch, 0
	.set _ZL21k_get_rows_back_floatIffEvPKT_PKiPT0_ll.has_dyn_sized_stack, 0
	.set _ZL21k_get_rows_back_floatIffEvPKT_PKiPT0_ll.has_recursion, 0
	.set _ZL21k_get_rows_back_floatIffEvPKT_PKiPT0_ll.has_indirect_call, 0
	.section	.AMDGPU.csdata,"",@progbits
; Kernel info:
; codeLenInByte = 376
; TotalNumSgprs: 14
; NumVgprs: 7
; ScratchSize: 0
; MemoryBound: 0
; FloatMode: 240
; IeeeMode: 1
; LDSByteSize: 0 bytes/workgroup (compile time only)
; SGPRBlocks: 0
; VGPRBlocks: 0
; NumSGPRsForWavesPerEU: 14
; NumVGPRsForWavesPerEU: 7
; NamedBarCnt: 0
; Occupancy: 16
; WaveLimiterHint : 0
; COMPUTE_PGM_RSRC2:SCRATCH_EN: 0
; COMPUTE_PGM_RSRC2:USER_SGPR: 2
; COMPUTE_PGM_RSRC2:TRAP_HANDLER: 0
; COMPUTE_PGM_RSRC2:TGID_X_EN: 1
; COMPUTE_PGM_RSRC2:TGID_Y_EN: 1
; COMPUTE_PGM_RSRC2:TGID_Z_EN: 0
; COMPUTE_PGM_RSRC2:TIDIG_COMP_CNT: 1
	.section	.AMDGPU.gpr_maximums,"",@progbits
	.set amdgpu.max_num_vgpr, 0
	.set amdgpu.max_num_agpr, 0
	.set amdgpu.max_num_sgpr, 0
	.section	.AMDGPU.csdata,"",@progbits
	.type	__hip_cuid_aa532972d73ef767,@object ; @__hip_cuid_aa532972d73ef767
	.section	.bss,"aw",@nobits
	.globl	__hip_cuid_aa532972d73ef767
__hip_cuid_aa532972d73ef767:
	.byte	0                               ; 0x0
	.size	__hip_cuid_aa532972d73ef767, 1

	.ident	"AMD clang version 22.0.0git (https://github.com/RadeonOpenCompute/llvm-project roc-7.2.4 26084 f58b06dce1f9c15707c5f808fd002e18c2accf7e)"
	.section	".note.GNU-stack","",@progbits
	.addrsig
	.addrsig_sym __hip_cuid_aa532972d73ef767
	.amdgpu_metadata
---
amdhsa.kernels:
  - .args:
      - .address_space:  global
        .offset:         0
        .size:           8
        .value_kind:     global_buffer
      - .address_space:  global
        .offset:         8
        .size:           8
        .value_kind:     global_buffer
      - .address_space:  global
        .offset:         16
        .size:           8
        .value_kind:     global_buffer
      - .offset:         24
        .size:           8
        .value_kind:     by_value
      - .offset:         32
        .size:           8
        .value_kind:     by_value
      - .offset:         40
        .size:           12
        .value_kind:     by_value
      - .offset:         56
        .size:           8
        .value_kind:     by_value
      - .offset:         64
        .size:           8
        .value_kind:     by_value
      - .offset:         72
        .size:           8
        .value_kind:     by_value
      - .offset:         80
        .size:           8
        .value_kind:     by_value
      - .offset:         88
        .size:           8
        .value_kind:     by_value
      - .offset:         96
        .size:           8
        .value_kind:     by_value
      - .offset:         104
        .size:           8
        .value_kind:     by_value
      - .offset:         112
        .size:           8
        .value_kind:     by_value
      - .offset:         120
        .size:           8
        .value_kind:     by_value
      - .offset:         128
        .size:           4
        .value_kind:     hidden_block_count_x
      - .offset:         132
        .size:           4
        .value_kind:     hidden_block_count_y
      - .offset:         136
        .size:           4
        .value_kind:     hidden_block_count_z
      - .offset:         140
        .size:           2
        .value_kind:     hidden_group_size_x
      - .offset:         142
        .size:           2
        .value_kind:     hidden_group_size_y
      - .offset:         144
        .size:           2
        .value_kind:     hidden_group_size_z
      - .offset:         146
        .size:           2
        .value_kind:     hidden_remainder_x
      - .offset:         148
        .size:           2
        .value_kind:     hidden_remainder_y
      - .offset:         150
        .size:           2
        .value_kind:     hidden_remainder_z
      - .offset:         168
        .size:           8
        .value_kind:     hidden_global_offset_x
      - .offset:         176
        .size:           8
        .value_kind:     hidden_global_offset_y
      - .offset:         184
        .size:           8
        .value_kind:     hidden_global_offset_z
      - .offset:         192
        .size:           2
        .value_kind:     hidden_grid_dims
    .group_segment_fixed_size: 0
    .kernarg_segment_align: 8
    .kernarg_segment_size: 384
    .language:       OpenCL C
    .language_version:
      - 2
      - 0
    .max_flat_workgroup_size: 1024
    .name:           _ZL16k_get_rows_floatI6__halffEvPKT_PKiPT0_ll15HIP_vector_typeIjLj3EEmmmmmmmmm
    .private_segment_fixed_size: 0
    .sgpr_count:     50
    .sgpr_spill_count: 0
    .symbol:         _ZL16k_get_rows_floatI6__halffEvPKT_PKiPT0_ll15HIP_vector_typeIjLj3EEmmmmmmmmm.kd
    .uniform_work_group_size: 1
    .uses_dynamic_stack: false
    .vgpr_count:     13
    .vgpr_spill_count: 0
    .wavefront_size: 32
  - .args:
      - .address_space:  global
        .offset:         0
        .size:           8
        .value_kind:     global_buffer
      - .address_space:  global
        .offset:         8
        .size:           8
        .value_kind:     global_buffer
      - .address_space:  global
        .offset:         16
        .size:           8
        .value_kind:     global_buffer
      - .offset:         24
        .size:           8
        .value_kind:     by_value
      - .offset:         32
        .size:           8
        .value_kind:     by_value
      - .offset:         40
        .size:           12
        .value_kind:     by_value
      - .offset:         56
        .size:           8
        .value_kind:     by_value
      - .offset:         64
        .size:           8
        .value_kind:     by_value
      - .offset:         72
        .size:           8
        .value_kind:     by_value
      - .offset:         80
        .size:           8
        .value_kind:     by_value
      - .offset:         88
        .size:           8
        .value_kind:     by_value
      - .offset:         96
        .size:           8
        .value_kind:     by_value
      - .offset:         104
        .size:           8
        .value_kind:     by_value
      - .offset:         112
        .size:           8
        .value_kind:     by_value
      - .offset:         120
        .size:           8
        .value_kind:     by_value
      - .offset:         128
        .size:           4
        .value_kind:     hidden_block_count_x
      - .offset:         132
        .size:           4
        .value_kind:     hidden_block_count_y
      - .offset:         136
        .size:           4
        .value_kind:     hidden_block_count_z
      - .offset:         140
        .size:           2
        .value_kind:     hidden_group_size_x
      - .offset:         142
        .size:           2
        .value_kind:     hidden_group_size_y
      - .offset:         144
        .size:           2
        .value_kind:     hidden_group_size_z
      - .offset:         146
        .size:           2
        .value_kind:     hidden_remainder_x
      - .offset:         148
        .size:           2
        .value_kind:     hidden_remainder_y
      - .offset:         150
        .size:           2
        .value_kind:     hidden_remainder_z
      - .offset:         168
        .size:           8
        .value_kind:     hidden_global_offset_x
      - .offset:         176
        .size:           8
        .value_kind:     hidden_global_offset_y
      - .offset:         184
        .size:           8
        .value_kind:     hidden_global_offset_z
      - .offset:         192
        .size:           2
        .value_kind:     hidden_grid_dims
    .group_segment_fixed_size: 0
    .kernarg_segment_align: 8
    .kernarg_segment_size: 384
    .language:       OpenCL C
    .language_version:
      - 2
      - 0
    .max_flat_workgroup_size: 1024
    .name:           _ZL16k_get_rows_floatIffEvPKT_PKiPT0_ll15HIP_vector_typeIjLj3EEmmmmmmmmm
    .private_segment_fixed_size: 0
    .sgpr_count:     50
    .sgpr_spill_count: 0
    .symbol:         _ZL16k_get_rows_floatIffEvPKT_PKiPT0_ll15HIP_vector_typeIjLj3EEmmmmmmmmm.kd
    .uniform_work_group_size: 1
    .uses_dynamic_stack: false
    .vgpr_count:     15
    .vgpr_spill_count: 0
    .wavefront_size: 32
  - .args:
      - .address_space:  global
        .offset:         0
        .size:           8
        .value_kind:     global_buffer
      - .address_space:  global
        .offset:         8
        .size:           8
        .value_kind:     global_buffer
      - .address_space:  global
        .offset:         16
        .size:           8
        .value_kind:     global_buffer
      - .offset:         24
        .size:           8
        .value_kind:     by_value
      - .offset:         32
        .size:           8
        .value_kind:     by_value
      - .offset:         40
        .size:           12
        .value_kind:     by_value
      - .offset:         56
        .size:           8
        .value_kind:     by_value
      - .offset:         64
        .size:           8
        .value_kind:     by_value
      - .offset:         72
        .size:           8
        .value_kind:     by_value
      - .offset:         80
        .size:           8
        .value_kind:     by_value
      - .offset:         88
        .size:           8
        .value_kind:     by_value
      - .offset:         96
        .size:           8
        .value_kind:     by_value
      - .offset:         104
        .size:           8
        .value_kind:     by_value
      - .offset:         112
        .size:           8
        .value_kind:     by_value
      - .offset:         120
        .size:           8
        .value_kind:     by_value
      - .offset:         128
        .size:           4
        .value_kind:     hidden_block_count_x
      - .offset:         132
        .size:           4
        .value_kind:     hidden_block_count_y
      - .offset:         136
        .size:           4
        .value_kind:     hidden_block_count_z
      - .offset:         140
        .size:           2
        .value_kind:     hidden_group_size_x
      - .offset:         142
        .size:           2
        .value_kind:     hidden_group_size_y
      - .offset:         144
        .size:           2
        .value_kind:     hidden_group_size_z
      - .offset:         146
        .size:           2
        .value_kind:     hidden_remainder_x
      - .offset:         148
        .size:           2
        .value_kind:     hidden_remainder_y
      - .offset:         150
        .size:           2
        .value_kind:     hidden_remainder_z
      - .offset:         168
        .size:           8
        .value_kind:     hidden_global_offset_x
      - .offset:         176
        .size:           8
        .value_kind:     hidden_global_offset_y
      - .offset:         184
        .size:           8
        .value_kind:     hidden_global_offset_z
      - .offset:         192
        .size:           2
        .value_kind:     hidden_grid_dims
    .group_segment_fixed_size: 0
    .kernarg_segment_align: 8
    .kernarg_segment_size: 384
    .language:       OpenCL C
    .language_version:
      - 2
      - 0
    .max_flat_workgroup_size: 1024
    .name:           _ZL16k_get_rows_floatIifEvPKT_PKiPT0_ll15HIP_vector_typeIjLj3EEmmmmmmmmm
    .private_segment_fixed_size: 0
    .sgpr_count:     77
    .sgpr_spill_count: 0
    .symbol:         _ZL16k_get_rows_floatIifEvPKT_PKiPT0_ll15HIP_vector_typeIjLj3EEmmmmmmmmm.kd
    .uniform_work_group_size: 1
    .uses_dynamic_stack: false
    .vgpr_count:     23
    .vgpr_spill_count: 0
    .wavefront_size: 32
  - .args:
      - .address_space:  global
        .offset:         0
        .size:           8
        .value_kind:     global_buffer
      - .address_space:  global
        .offset:         8
        .size:           8
        .value_kind:     global_buffer
      - .address_space:  global
        .offset:         16
        .size:           8
        .value_kind:     global_buffer
      - .offset:         24
        .size:           8
        .value_kind:     by_value
      - .offset:         32
        .size:           8
        .value_kind:     by_value
      - .offset:         40
        .size:           12
        .value_kind:     by_value
      - .offset:         56
        .size:           8
        .value_kind:     by_value
      - .offset:         64
        .size:           8
        .value_kind:     by_value
      - .offset:         72
        .size:           8
        .value_kind:     by_value
      - .offset:         80
        .size:           8
        .value_kind:     by_value
      - .offset:         88
        .size:           8
        .value_kind:     by_value
      - .offset:         96
        .size:           8
        .value_kind:     by_value
      - .offset:         104
        .size:           8
        .value_kind:     by_value
      - .offset:         112
        .size:           8
        .value_kind:     by_value
      - .offset:         120
        .size:           8
        .value_kind:     by_value
      - .offset:         128
        .size:           4
        .value_kind:     hidden_block_count_x
      - .offset:         132
        .size:           4
        .value_kind:     hidden_block_count_y
      - .offset:         136
        .size:           4
        .value_kind:     hidden_block_count_z
      - .offset:         140
        .size:           2
        .value_kind:     hidden_group_size_x
      - .offset:         142
        .size:           2
        .value_kind:     hidden_group_size_y
      - .offset:         144
        .size:           2
        .value_kind:     hidden_group_size_z
      - .offset:         146
        .size:           2
        .value_kind:     hidden_remainder_x
      - .offset:         148
        .size:           2
        .value_kind:     hidden_remainder_y
      - .offset:         150
        .size:           2
        .value_kind:     hidden_remainder_z
      - .offset:         168
        .size:           8
        .value_kind:     hidden_global_offset_x
      - .offset:         176
        .size:           8
        .value_kind:     hidden_global_offset_y
      - .offset:         184
        .size:           8
        .value_kind:     hidden_global_offset_z
      - .offset:         192
        .size:           2
        .value_kind:     hidden_grid_dims
    .group_segment_fixed_size: 0
    .kernarg_segment_align: 8
    .kernarg_segment_size: 384
    .language:       OpenCL C
    .language_version:
      - 2
      - 0
    .max_flat_workgroup_size: 1024
    .name:           _ZL16k_get_rows_floatI14__hip_bfloat16fEvPKT_PKiPT0_ll15HIP_vector_typeIjLj3EEmmmmmmmmm
    .private_segment_fixed_size: 0
    .sgpr_count:     50
    .sgpr_spill_count: 0
    .symbol:         _ZL16k_get_rows_floatI14__hip_bfloat16fEvPKT_PKiPT0_ll15HIP_vector_typeIjLj3EEmmmmmmmmm.kd
    .uniform_work_group_size: 1
    .uses_dynamic_stack: false
    .vgpr_count:     13
    .vgpr_spill_count: 0
    .wavefront_size: 32
  - .args:
      - .actual_access:  read_only
        .address_space:  global
        .offset:         0
        .size:           8
        .value_kind:     global_buffer
      - .actual_access:  read_only
        .address_space:  global
        .offset:         8
        .size:           8
        .value_kind:     global_buffer
      - .actual_access:  write_only
        .address_space:  global
        .offset:         16
        .size:           8
        .value_kind:     global_buffer
      - .offset:         24
        .size:           8
        .value_kind:     by_value
      - .offset:         32
        .size:           8
        .value_kind:     by_value
      - .offset:         40
        .size:           12
        .value_kind:     by_value
      - .offset:         56
        .size:           8
        .value_kind:     by_value
      - .offset:         64
        .size:           8
        .value_kind:     by_value
      - .offset:         72
        .size:           8
        .value_kind:     by_value
      - .offset:         80
        .size:           8
        .value_kind:     by_value
      - .offset:         88
        .size:           8
        .value_kind:     by_value
      - .offset:         96
        .size:           8
        .value_kind:     by_value
      - .offset:         104
        .size:           8
        .value_kind:     by_value
      - .offset:         112
        .size:           8
        .value_kind:     by_value
      - .offset:         120
        .size:           8
        .value_kind:     by_value
      - .offset:         128
        .size:           4
        .value_kind:     hidden_block_count_x
      - .offset:         132
        .size:           4
        .value_kind:     hidden_block_count_y
      - .offset:         136
        .size:           4
        .value_kind:     hidden_block_count_z
      - .offset:         140
        .size:           2
        .value_kind:     hidden_group_size_x
      - .offset:         142
        .size:           2
        .value_kind:     hidden_group_size_y
      - .offset:         144
        .size:           2
        .value_kind:     hidden_group_size_z
      - .offset:         146
        .size:           2
        .value_kind:     hidden_remainder_x
      - .offset:         148
        .size:           2
        .value_kind:     hidden_remainder_y
      - .offset:         150
        .size:           2
        .value_kind:     hidden_remainder_z
      - .offset:         168
        .size:           8
        .value_kind:     hidden_global_offset_x
      - .offset:         176
        .size:           8
        .value_kind:     hidden_global_offset_y
      - .offset:         184
        .size:           8
        .value_kind:     hidden_global_offset_z
      - .offset:         192
        .size:           2
        .value_kind:     hidden_grid_dims
    .group_segment_fixed_size: 0
    .kernarg_segment_align: 8
    .kernarg_segment_size: 384
    .language:       OpenCL C
    .language_version:
      - 2
      - 0
    .max_flat_workgroup_size: 1024
    .name:           _ZL10k_get_rowsILi128ELi1EXadL_ZL15dequantize_q1_0PKvliR15HIP_vector_typeIfLj2EEEEfEvS1_PKiPT2_llS2_IjLj3EEmmmmmmmmm
    .private_segment_fixed_size: 0
    .sgpr_count:     58
    .sgpr_spill_count: 0
    .symbol:         _ZL10k_get_rowsILi128ELi1EXadL_ZL15dequantize_q1_0PKvliR15HIP_vector_typeIfLj2EEEEfEvS1_PKiPT2_llS2_IjLj3EEmmmmmmmmm.kd
    .uniform_work_group_size: 1
    .uses_dynamic_stack: false
    .vgpr_count:     23
    .vgpr_spill_count: 0
    .wavefront_size: 32
  - .args:
      - .actual_access:  read_only
        .address_space:  global
        .offset:         0
        .size:           8
        .value_kind:     global_buffer
      - .actual_access:  read_only
        .address_space:  global
        .offset:         8
        .size:           8
        .value_kind:     global_buffer
      - .actual_access:  write_only
        .address_space:  global
        .offset:         16
        .size:           8
        .value_kind:     global_buffer
      - .offset:         24
        .size:           8
        .value_kind:     by_value
      - .offset:         32
        .size:           8
        .value_kind:     by_value
      - .offset:         40
        .size:           12
        .value_kind:     by_value
      - .offset:         56
        .size:           8
        .value_kind:     by_value
      - .offset:         64
        .size:           8
        .value_kind:     by_value
      - .offset:         72
        .size:           8
        .value_kind:     by_value
      - .offset:         80
        .size:           8
        .value_kind:     by_value
      - .offset:         88
        .size:           8
        .value_kind:     by_value
      - .offset:         96
        .size:           8
        .value_kind:     by_value
      - .offset:         104
        .size:           8
        .value_kind:     by_value
      - .offset:         112
        .size:           8
        .value_kind:     by_value
      - .offset:         120
        .size:           8
        .value_kind:     by_value
      - .offset:         128
        .size:           4
        .value_kind:     hidden_block_count_x
      - .offset:         132
        .size:           4
        .value_kind:     hidden_block_count_y
      - .offset:         136
        .size:           4
        .value_kind:     hidden_block_count_z
      - .offset:         140
        .size:           2
        .value_kind:     hidden_group_size_x
      - .offset:         142
        .size:           2
        .value_kind:     hidden_group_size_y
      - .offset:         144
        .size:           2
        .value_kind:     hidden_group_size_z
      - .offset:         146
        .size:           2
        .value_kind:     hidden_remainder_x
      - .offset:         148
        .size:           2
        .value_kind:     hidden_remainder_y
      - .offset:         150
        .size:           2
        .value_kind:     hidden_remainder_z
      - .offset:         168
        .size:           8
        .value_kind:     hidden_global_offset_x
      - .offset:         176
        .size:           8
        .value_kind:     hidden_global_offset_y
      - .offset:         184
        .size:           8
        .value_kind:     hidden_global_offset_z
      - .offset:         192
        .size:           2
        .value_kind:     hidden_grid_dims
    .group_segment_fixed_size: 0
    .kernarg_segment_align: 8
    .kernarg_segment_size: 384
    .language:       OpenCL C
    .language_version:
      - 2
      - 0
    .max_flat_workgroup_size: 1024
    .name:           _ZL10k_get_rowsILi32ELi2EXadL_ZL15dequantize_q4_0PKvliR15HIP_vector_typeIfLj2EEEEfEvS1_PKiPT2_llS2_IjLj3EEmmmmmmmmm
    .private_segment_fixed_size: 0
    .sgpr_count:     56
    .sgpr_spill_count: 0
    .symbol:         _ZL10k_get_rowsILi32ELi2EXadL_ZL15dequantize_q4_0PKvliR15HIP_vector_typeIfLj2EEEEfEvS1_PKiPT2_llS2_IjLj3EEmmmmmmmmm.kd
    .uniform_work_group_size: 1
    .uses_dynamic_stack: false
    .vgpr_count:     16
    .vgpr_spill_count: 0
    .wavefront_size: 32
  - .args:
      - .actual_access:  read_only
        .address_space:  global
        .offset:         0
        .size:           8
        .value_kind:     global_buffer
      - .actual_access:  read_only
        .address_space:  global
        .offset:         8
        .size:           8
        .value_kind:     global_buffer
      - .actual_access:  write_only
        .address_space:  global
        .offset:         16
        .size:           8
        .value_kind:     global_buffer
      - .offset:         24
        .size:           8
        .value_kind:     by_value
      - .offset:         32
        .size:           8
        .value_kind:     by_value
      - .offset:         40
        .size:           12
        .value_kind:     by_value
      - .offset:         56
        .size:           8
        .value_kind:     by_value
      - .offset:         64
        .size:           8
        .value_kind:     by_value
      - .offset:         72
        .size:           8
        .value_kind:     by_value
      - .offset:         80
        .size:           8
        .value_kind:     by_value
      - .offset:         88
        .size:           8
        .value_kind:     by_value
      - .offset:         96
        .size:           8
        .value_kind:     by_value
      - .offset:         104
        .size:           8
        .value_kind:     by_value
      - .offset:         112
        .size:           8
        .value_kind:     by_value
      - .offset:         120
        .size:           8
        .value_kind:     by_value
      - .offset:         128
        .size:           4
        .value_kind:     hidden_block_count_x
      - .offset:         132
        .size:           4
        .value_kind:     hidden_block_count_y
      - .offset:         136
        .size:           4
        .value_kind:     hidden_block_count_z
      - .offset:         140
        .size:           2
        .value_kind:     hidden_group_size_x
      - .offset:         142
        .size:           2
        .value_kind:     hidden_group_size_y
      - .offset:         144
        .size:           2
        .value_kind:     hidden_group_size_z
      - .offset:         146
        .size:           2
        .value_kind:     hidden_remainder_x
      - .offset:         148
        .size:           2
        .value_kind:     hidden_remainder_y
      - .offset:         150
        .size:           2
        .value_kind:     hidden_remainder_z
      - .offset:         168
        .size:           8
        .value_kind:     hidden_global_offset_x
      - .offset:         176
        .size:           8
        .value_kind:     hidden_global_offset_y
      - .offset:         184
        .size:           8
        .value_kind:     hidden_global_offset_z
      - .offset:         192
        .size:           2
        .value_kind:     hidden_grid_dims
    .group_segment_fixed_size: 0
    .kernarg_segment_align: 8
    .kernarg_segment_size: 384
    .language:       OpenCL C
    .language_version:
      - 2
      - 0
    .max_flat_workgroup_size: 1024
    .name:           _ZL10k_get_rowsILi32ELi2EXadL_ZL15dequantize_q4_1PKvliR15HIP_vector_typeIfLj2EEEEfEvS1_PKiPT2_llS2_IjLj3EEmmmmmmmmm
    .private_segment_fixed_size: 0
    .sgpr_count:     56
    .sgpr_spill_count: 0
    .symbol:         _ZL10k_get_rowsILi32ELi2EXadL_ZL15dequantize_q4_1PKvliR15HIP_vector_typeIfLj2EEEEfEvS1_PKiPT2_llS2_IjLj3EEmmmmmmmmm.kd
    .uniform_work_group_size: 1
    .uses_dynamic_stack: false
    .vgpr_count:     16
    .vgpr_spill_count: 0
    .wavefront_size: 32
  - .args:
      - .actual_access:  read_only
        .address_space:  global
        .offset:         0
        .size:           8
        .value_kind:     global_buffer
      - .actual_access:  read_only
        .address_space:  global
        .offset:         8
        .size:           8
        .value_kind:     global_buffer
      - .actual_access:  write_only
        .address_space:  global
        .offset:         16
        .size:           8
        .value_kind:     global_buffer
      - .offset:         24
        .size:           8
        .value_kind:     by_value
      - .offset:         32
        .size:           8
        .value_kind:     by_value
      - .offset:         40
        .size:           12
        .value_kind:     by_value
      - .offset:         56
        .size:           8
        .value_kind:     by_value
      - .offset:         64
        .size:           8
        .value_kind:     by_value
      - .offset:         72
        .size:           8
        .value_kind:     by_value
      - .offset:         80
        .size:           8
        .value_kind:     by_value
      - .offset:         88
        .size:           8
        .value_kind:     by_value
      - .offset:         96
        .size:           8
        .value_kind:     by_value
      - .offset:         104
        .size:           8
        .value_kind:     by_value
      - .offset:         112
        .size:           8
        .value_kind:     by_value
      - .offset:         120
        .size:           8
        .value_kind:     by_value
      - .offset:         128
        .size:           4
        .value_kind:     hidden_block_count_x
      - .offset:         132
        .size:           4
        .value_kind:     hidden_block_count_y
      - .offset:         136
        .size:           4
        .value_kind:     hidden_block_count_z
      - .offset:         140
        .size:           2
        .value_kind:     hidden_group_size_x
      - .offset:         142
        .size:           2
        .value_kind:     hidden_group_size_y
      - .offset:         144
        .size:           2
        .value_kind:     hidden_group_size_z
      - .offset:         146
        .size:           2
        .value_kind:     hidden_remainder_x
      - .offset:         148
        .size:           2
        .value_kind:     hidden_remainder_y
      - .offset:         150
        .size:           2
        .value_kind:     hidden_remainder_z
      - .offset:         168
        .size:           8
        .value_kind:     hidden_global_offset_x
      - .offset:         176
        .size:           8
        .value_kind:     hidden_global_offset_y
      - .offset:         184
        .size:           8
        .value_kind:     hidden_global_offset_z
      - .offset:         192
        .size:           2
        .value_kind:     hidden_grid_dims
    .group_segment_fixed_size: 0
    .kernarg_segment_align: 8
    .kernarg_segment_size: 384
    .language:       OpenCL C
    .language_version:
      - 2
      - 0
    .max_flat_workgroup_size: 1024
    .name:           _ZL10k_get_rowsILi32ELi2EXadL_ZL15dequantize_q5_0PKvliR15HIP_vector_typeIfLj2EEEEfEvS1_PKiPT2_llS2_IjLj3EEmmmmmmmmm
    .private_segment_fixed_size: 0
    .sgpr_count:     56
    .sgpr_spill_count: 0
    .symbol:         _ZL10k_get_rowsILi32ELi2EXadL_ZL15dequantize_q5_0PKvliR15HIP_vector_typeIfLj2EEEEfEvS1_PKiPT2_llS2_IjLj3EEmmmmmmmmm.kd
    .uniform_work_group_size: 1
    .uses_dynamic_stack: false
    .vgpr_count:     17
    .vgpr_spill_count: 0
    .wavefront_size: 32
  - .args:
      - .actual_access:  read_only
        .address_space:  global
        .offset:         0
        .size:           8
        .value_kind:     global_buffer
      - .actual_access:  read_only
        .address_space:  global
        .offset:         8
        .size:           8
        .value_kind:     global_buffer
      - .actual_access:  write_only
        .address_space:  global
        .offset:         16
        .size:           8
        .value_kind:     global_buffer
      - .offset:         24
        .size:           8
        .value_kind:     by_value
      - .offset:         32
        .size:           8
        .value_kind:     by_value
      - .offset:         40
        .size:           12
        .value_kind:     by_value
      - .offset:         56
        .size:           8
        .value_kind:     by_value
      - .offset:         64
        .size:           8
        .value_kind:     by_value
      - .offset:         72
        .size:           8
        .value_kind:     by_value
      - .offset:         80
        .size:           8
        .value_kind:     by_value
      - .offset:         88
        .size:           8
        .value_kind:     by_value
      - .offset:         96
        .size:           8
        .value_kind:     by_value
      - .offset:         104
        .size:           8
        .value_kind:     by_value
      - .offset:         112
        .size:           8
        .value_kind:     by_value
      - .offset:         120
        .size:           8
        .value_kind:     by_value
      - .offset:         128
        .size:           4
        .value_kind:     hidden_block_count_x
      - .offset:         132
        .size:           4
        .value_kind:     hidden_block_count_y
      - .offset:         136
        .size:           4
        .value_kind:     hidden_block_count_z
      - .offset:         140
        .size:           2
        .value_kind:     hidden_group_size_x
      - .offset:         142
        .size:           2
        .value_kind:     hidden_group_size_y
      - .offset:         144
        .size:           2
        .value_kind:     hidden_group_size_z
      - .offset:         146
        .size:           2
        .value_kind:     hidden_remainder_x
      - .offset:         148
        .size:           2
        .value_kind:     hidden_remainder_y
      - .offset:         150
        .size:           2
        .value_kind:     hidden_remainder_z
      - .offset:         168
        .size:           8
        .value_kind:     hidden_global_offset_x
      - .offset:         176
        .size:           8
        .value_kind:     hidden_global_offset_y
      - .offset:         184
        .size:           8
        .value_kind:     hidden_global_offset_z
      - .offset:         192
        .size:           2
        .value_kind:     hidden_grid_dims
    .group_segment_fixed_size: 0
    .kernarg_segment_align: 8
    .kernarg_segment_size: 384
    .language:       OpenCL C
    .language_version:
      - 2
      - 0
    .max_flat_workgroup_size: 1024
    .name:           _ZL10k_get_rowsILi32ELi2EXadL_ZL15dequantize_q5_1PKvliR15HIP_vector_typeIfLj2EEEEfEvS1_PKiPT2_llS2_IjLj3EEmmmmmmmmm
    .private_segment_fixed_size: 0
    .sgpr_count:     56
    .sgpr_spill_count: 0
    .symbol:         _ZL10k_get_rowsILi32ELi2EXadL_ZL15dequantize_q5_1PKvliR15HIP_vector_typeIfLj2EEEEfEvS1_PKiPT2_llS2_IjLj3EEmmmmmmmmm.kd
    .uniform_work_group_size: 1
    .uses_dynamic_stack: false
    .vgpr_count:     17
    .vgpr_spill_count: 0
    .wavefront_size: 32
  - .args:
      - .actual_access:  read_only
        .address_space:  global
        .offset:         0
        .size:           8
        .value_kind:     global_buffer
      - .actual_access:  read_only
        .address_space:  global
        .offset:         8
        .size:           8
        .value_kind:     global_buffer
      - .actual_access:  write_only
        .address_space:  global
        .offset:         16
        .size:           8
        .value_kind:     global_buffer
      - .offset:         24
        .size:           8
        .value_kind:     by_value
      - .offset:         32
        .size:           8
        .value_kind:     by_value
      - .offset:         40
        .size:           12
        .value_kind:     by_value
      - .offset:         56
        .size:           8
        .value_kind:     by_value
      - .offset:         64
        .size:           8
        .value_kind:     by_value
      - .offset:         72
        .size:           8
        .value_kind:     by_value
      - .offset:         80
        .size:           8
        .value_kind:     by_value
      - .offset:         88
        .size:           8
        .value_kind:     by_value
      - .offset:         96
        .size:           8
        .value_kind:     by_value
      - .offset:         104
        .size:           8
        .value_kind:     by_value
      - .offset:         112
        .size:           8
        .value_kind:     by_value
      - .offset:         120
        .size:           8
        .value_kind:     by_value
      - .offset:         128
        .size:           4
        .value_kind:     hidden_block_count_x
      - .offset:         132
        .size:           4
        .value_kind:     hidden_block_count_y
      - .offset:         136
        .size:           4
        .value_kind:     hidden_block_count_z
      - .offset:         140
        .size:           2
        .value_kind:     hidden_group_size_x
      - .offset:         142
        .size:           2
        .value_kind:     hidden_group_size_y
      - .offset:         144
        .size:           2
        .value_kind:     hidden_group_size_z
      - .offset:         146
        .size:           2
        .value_kind:     hidden_remainder_x
      - .offset:         148
        .size:           2
        .value_kind:     hidden_remainder_y
      - .offset:         150
        .size:           2
        .value_kind:     hidden_remainder_z
      - .offset:         168
        .size:           8
        .value_kind:     hidden_global_offset_x
      - .offset:         176
        .size:           8
        .value_kind:     hidden_global_offset_y
      - .offset:         184
        .size:           8
        .value_kind:     hidden_global_offset_z
      - .offset:         192
        .size:           2
        .value_kind:     hidden_grid_dims
    .group_segment_fixed_size: 0
    .kernarg_segment_align: 8
    .kernarg_segment_size: 384
    .language:       OpenCL C
    .language_version:
      - 2
      - 0
    .max_flat_workgroup_size: 1024
    .name:           _ZL10k_get_rowsILi32ELi1EXadL_ZL15dequantize_q8_0PKvliR15HIP_vector_typeIfLj2EEEEfEvS1_PKiPT2_llS2_IjLj3EEmmmmmmmmm
    .private_segment_fixed_size: 0
    .sgpr_count:     58
    .sgpr_spill_count: 0
    .symbol:         _ZL10k_get_rowsILi32ELi1EXadL_ZL15dequantize_q8_0PKvliR15HIP_vector_typeIfLj2EEEEfEvS1_PKiPT2_llS2_IjLj3EEmmmmmmmmm.kd
    .uniform_work_group_size: 1
    .uses_dynamic_stack: false
    .vgpr_count:     19
    .vgpr_spill_count: 0
    .wavefront_size: 32
  - .args:
      - .address_space:  global
        .offset:         0
        .size:           8
        .value_kind:     global_buffer
      - .address_space:  global
        .offset:         8
        .size:           8
        .value_kind:     global_buffer
      - .address_space:  global
        .offset:         16
        .size:           8
        .value_kind:     global_buffer
      - .offset:         24
        .size:           8
        .value_kind:     by_value
      - .offset:         32
        .size:           8
        .value_kind:     by_value
      - .offset:         40
        .size:           12
        .value_kind:     by_value
      - .offset:         56
        .size:           8
        .value_kind:     by_value
      - .offset:         64
        .size:           8
        .value_kind:     by_value
      - .offset:         72
        .size:           8
        .value_kind:     by_value
      - .offset:         80
        .size:           8
        .value_kind:     by_value
      - .offset:         88
        .size:           8
        .value_kind:     by_value
      - .offset:         96
        .size:           8
        .value_kind:     by_value
      - .offset:         104
        .size:           8
        .value_kind:     by_value
      - .offset:         112
        .size:           8
        .value_kind:     by_value
      - .offset:         120
        .size:           8
        .value_kind:     by_value
      - .offset:         128
        .size:           4
        .value_kind:     hidden_block_count_x
      - .offset:         132
        .size:           4
        .value_kind:     hidden_block_count_y
      - .offset:         136
        .size:           4
        .value_kind:     hidden_block_count_z
      - .offset:         140
        .size:           2
        .value_kind:     hidden_group_size_x
      - .offset:         142
        .size:           2
        .value_kind:     hidden_group_size_y
      - .offset:         144
        .size:           2
        .value_kind:     hidden_group_size_z
      - .offset:         146
        .size:           2
        .value_kind:     hidden_remainder_x
      - .offset:         148
        .size:           2
        .value_kind:     hidden_remainder_y
      - .offset:         150
        .size:           2
        .value_kind:     hidden_remainder_z
      - .offset:         168
        .size:           8
        .value_kind:     hidden_global_offset_x
      - .offset:         176
        .size:           8
        .value_kind:     hidden_global_offset_y
      - .offset:         184
        .size:           8
        .value_kind:     hidden_global_offset_z
      - .offset:         192
        .size:           2
        .value_kind:     hidden_grid_dims
    .group_segment_fixed_size: 0
    .kernarg_segment_align: 8
    .kernarg_segment_size: 384
    .language:       OpenCL C
    .language_version:
      - 2
      - 0
    .max_flat_workgroup_size: 1024
    .name:           _ZL16k_get_rows_floatI6__halfiEvPKT_PKiPT0_ll15HIP_vector_typeIjLj3EEmmmmmmmmm
    .private_segment_fixed_size: 0
    .sgpr_count:     52
    .sgpr_spill_count: 0
    .symbol:         _ZL16k_get_rows_floatI6__halfiEvPKT_PKiPT0_ll15HIP_vector_typeIjLj3EEmmmmmmmmm.kd
    .uniform_work_group_size: 1
    .uses_dynamic_stack: false
    .vgpr_count:     16
    .vgpr_spill_count: 0
    .wavefront_size: 32
  - .args:
      - .address_space:  global
        .offset:         0
        .size:           8
        .value_kind:     global_buffer
      - .address_space:  global
        .offset:         8
        .size:           8
        .value_kind:     global_buffer
      - .address_space:  global
        .offset:         16
        .size:           8
        .value_kind:     global_buffer
      - .offset:         24
        .size:           8
        .value_kind:     by_value
      - .offset:         32
        .size:           8
        .value_kind:     by_value
      - .offset:         40
        .size:           12
        .value_kind:     by_value
      - .offset:         56
        .size:           8
        .value_kind:     by_value
      - .offset:         64
        .size:           8
        .value_kind:     by_value
      - .offset:         72
        .size:           8
        .value_kind:     by_value
      - .offset:         80
        .size:           8
        .value_kind:     by_value
      - .offset:         88
        .size:           8
        .value_kind:     by_value
      - .offset:         96
        .size:           8
        .value_kind:     by_value
      - .offset:         104
        .size:           8
        .value_kind:     by_value
      - .offset:         112
        .size:           8
        .value_kind:     by_value
      - .offset:         120
        .size:           8
        .value_kind:     by_value
      - .offset:         128
        .size:           4
        .value_kind:     hidden_block_count_x
      - .offset:         132
        .size:           4
        .value_kind:     hidden_block_count_y
      - .offset:         136
        .size:           4
        .value_kind:     hidden_block_count_z
      - .offset:         140
        .size:           2
        .value_kind:     hidden_group_size_x
      - .offset:         142
        .size:           2
        .value_kind:     hidden_group_size_y
      - .offset:         144
        .size:           2
        .value_kind:     hidden_group_size_z
      - .offset:         146
        .size:           2
        .value_kind:     hidden_remainder_x
      - .offset:         148
        .size:           2
        .value_kind:     hidden_remainder_y
      - .offset:         150
        .size:           2
        .value_kind:     hidden_remainder_z
      - .offset:         168
        .size:           8
        .value_kind:     hidden_global_offset_x
      - .offset:         176
        .size:           8
        .value_kind:     hidden_global_offset_y
      - .offset:         184
        .size:           8
        .value_kind:     hidden_global_offset_z
      - .offset:         192
        .size:           2
        .value_kind:     hidden_grid_dims
    .group_segment_fixed_size: 0
    .kernarg_segment_align: 8
    .kernarg_segment_size: 384
    .language:       OpenCL C
    .language_version:
      - 2
      - 0
    .max_flat_workgroup_size: 1024
    .name:           _ZL16k_get_rows_floatIfiEvPKT_PKiPT0_ll15HIP_vector_typeIjLj3EEmmmmmmmmm
    .private_segment_fixed_size: 0
    .sgpr_count:     52
    .sgpr_spill_count: 0
    .symbol:         _ZL16k_get_rows_floatIfiEvPKT_PKiPT0_ll15HIP_vector_typeIjLj3EEmmmmmmmmm.kd
    .uniform_work_group_size: 1
    .uses_dynamic_stack: false
    .vgpr_count:     15
    .vgpr_spill_count: 0
    .wavefront_size: 32
  - .args:
      - .address_space:  global
        .offset:         0
        .size:           8
        .value_kind:     global_buffer
      - .address_space:  global
        .offset:         8
        .size:           8
        .value_kind:     global_buffer
      - .address_space:  global
        .offset:         16
        .size:           8
        .value_kind:     global_buffer
      - .offset:         24
        .size:           8
        .value_kind:     by_value
      - .offset:         32
        .size:           8
        .value_kind:     by_value
      - .offset:         40
        .size:           12
        .value_kind:     by_value
      - .offset:         56
        .size:           8
        .value_kind:     by_value
      - .offset:         64
        .size:           8
        .value_kind:     by_value
      - .offset:         72
        .size:           8
        .value_kind:     by_value
      - .offset:         80
        .size:           8
        .value_kind:     by_value
      - .offset:         88
        .size:           8
        .value_kind:     by_value
      - .offset:         96
        .size:           8
        .value_kind:     by_value
      - .offset:         104
        .size:           8
        .value_kind:     by_value
      - .offset:         112
        .size:           8
        .value_kind:     by_value
      - .offset:         120
        .size:           8
        .value_kind:     by_value
      - .offset:         128
        .size:           4
        .value_kind:     hidden_block_count_x
      - .offset:         132
        .size:           4
        .value_kind:     hidden_block_count_y
      - .offset:         136
        .size:           4
        .value_kind:     hidden_block_count_z
      - .offset:         140
        .size:           2
        .value_kind:     hidden_group_size_x
      - .offset:         142
        .size:           2
        .value_kind:     hidden_group_size_y
      - .offset:         144
        .size:           2
        .value_kind:     hidden_group_size_z
      - .offset:         146
        .size:           2
        .value_kind:     hidden_remainder_x
      - .offset:         148
        .size:           2
        .value_kind:     hidden_remainder_y
      - .offset:         150
        .size:           2
        .value_kind:     hidden_remainder_z
      - .offset:         168
        .size:           8
        .value_kind:     hidden_global_offset_x
      - .offset:         176
        .size:           8
        .value_kind:     hidden_global_offset_y
      - .offset:         184
        .size:           8
        .value_kind:     hidden_global_offset_z
      - .offset:         192
        .size:           2
        .value_kind:     hidden_grid_dims
    .group_segment_fixed_size: 0
    .kernarg_segment_align: 8
    .kernarg_segment_size: 384
    .language:       OpenCL C
    .language_version:
      - 2
      - 0
    .max_flat_workgroup_size: 1024
    .name:           _ZL16k_get_rows_floatIiiEvPKT_PKiPT0_ll15HIP_vector_typeIjLj3EEmmmmmmmmm
    .private_segment_fixed_size: 0
    .sgpr_count:     52
    .sgpr_spill_count: 0
    .symbol:         _ZL16k_get_rows_floatIiiEvPKT_PKiPT0_ll15HIP_vector_typeIjLj3EEmmmmmmmmm.kd
    .uniform_work_group_size: 1
    .uses_dynamic_stack: false
    .vgpr_count:     15
    .vgpr_spill_count: 0
    .wavefront_size: 32
  - .args:
      - .address_space:  global
        .offset:         0
        .size:           8
        .value_kind:     global_buffer
      - .address_space:  global
        .offset:         8
        .size:           8
        .value_kind:     global_buffer
      - .address_space:  global
        .offset:         16
        .size:           8
        .value_kind:     global_buffer
      - .offset:         24
        .size:           8
        .value_kind:     by_value
      - .offset:         32
        .size:           8
        .value_kind:     by_value
      - .offset:         40
        .size:           12
        .value_kind:     by_value
      - .offset:         56
        .size:           8
        .value_kind:     by_value
      - .offset:         64
        .size:           8
        .value_kind:     by_value
      - .offset:         72
        .size:           8
        .value_kind:     by_value
      - .offset:         80
        .size:           8
        .value_kind:     by_value
      - .offset:         88
        .size:           8
        .value_kind:     by_value
      - .offset:         96
        .size:           8
        .value_kind:     by_value
      - .offset:         104
        .size:           8
        .value_kind:     by_value
      - .offset:         112
        .size:           8
        .value_kind:     by_value
      - .offset:         120
        .size:           8
        .value_kind:     by_value
      - .offset:         128
        .size:           4
        .value_kind:     hidden_block_count_x
      - .offset:         132
        .size:           4
        .value_kind:     hidden_block_count_y
      - .offset:         136
        .size:           4
        .value_kind:     hidden_block_count_z
      - .offset:         140
        .size:           2
        .value_kind:     hidden_group_size_x
      - .offset:         142
        .size:           2
        .value_kind:     hidden_group_size_y
      - .offset:         144
        .size:           2
        .value_kind:     hidden_group_size_z
      - .offset:         146
        .size:           2
        .value_kind:     hidden_remainder_x
      - .offset:         148
        .size:           2
        .value_kind:     hidden_remainder_y
      - .offset:         150
        .size:           2
        .value_kind:     hidden_remainder_z
      - .offset:         168
        .size:           8
        .value_kind:     hidden_global_offset_x
      - .offset:         176
        .size:           8
        .value_kind:     hidden_global_offset_y
      - .offset:         184
        .size:           8
        .value_kind:     hidden_global_offset_z
      - .offset:         192
        .size:           2
        .value_kind:     hidden_grid_dims
    .group_segment_fixed_size: 0
    .kernarg_segment_align: 8
    .kernarg_segment_size: 384
    .language:       OpenCL C
    .language_version:
      - 2
      - 0
    .max_flat_workgroup_size: 1024
    .name:           _ZL16k_get_rows_floatI14__hip_bfloat16iEvPKT_PKiPT0_ll15HIP_vector_typeIjLj3EEmmmmmmmmm
    .private_segment_fixed_size: 0
    .sgpr_count:     52
    .sgpr_spill_count: 0
    .symbol:         _ZL16k_get_rows_floatI14__hip_bfloat16iEvPKT_PKiPT0_ll15HIP_vector_typeIjLj3EEmmmmmmmmm.kd
    .uniform_work_group_size: 1
    .uses_dynamic_stack: false
    .vgpr_count:     16
    .vgpr_spill_count: 0
    .wavefront_size: 32
  - .args:
      - .actual_access:  read_only
        .address_space:  global
        .offset:         0
        .size:           8
        .value_kind:     global_buffer
      - .actual_access:  read_only
        .address_space:  global
        .offset:         8
        .size:           8
        .value_kind:     global_buffer
      - .actual_access:  write_only
        .address_space:  global
        .offset:         16
        .size:           8
        .value_kind:     global_buffer
      - .offset:         24
        .size:           8
        .value_kind:     by_value
      - .offset:         32
        .size:           8
        .value_kind:     by_value
      - .offset:         40
        .size:           12
        .value_kind:     by_value
      - .offset:         56
        .size:           8
        .value_kind:     by_value
      - .offset:         64
        .size:           8
        .value_kind:     by_value
      - .offset:         72
        .size:           8
        .value_kind:     by_value
      - .offset:         80
        .size:           8
        .value_kind:     by_value
      - .offset:         88
        .size:           8
        .value_kind:     by_value
      - .offset:         96
        .size:           8
        .value_kind:     by_value
      - .offset:         104
        .size:           8
        .value_kind:     by_value
      - .offset:         112
        .size:           8
        .value_kind:     by_value
      - .offset:         120
        .size:           8
        .value_kind:     by_value
      - .offset:         128
        .size:           4
        .value_kind:     hidden_block_count_x
      - .offset:         132
        .size:           4
        .value_kind:     hidden_block_count_y
      - .offset:         136
        .size:           4
        .value_kind:     hidden_block_count_z
      - .offset:         140
        .size:           2
        .value_kind:     hidden_group_size_x
      - .offset:         142
        .size:           2
        .value_kind:     hidden_group_size_y
      - .offset:         144
        .size:           2
        .value_kind:     hidden_group_size_z
      - .offset:         146
        .size:           2
        .value_kind:     hidden_remainder_x
      - .offset:         148
        .size:           2
        .value_kind:     hidden_remainder_y
      - .offset:         150
        .size:           2
        .value_kind:     hidden_remainder_z
      - .offset:         168
        .size:           8
        .value_kind:     hidden_global_offset_x
      - .offset:         176
        .size:           8
        .value_kind:     hidden_global_offset_y
      - .offset:         184
        .size:           8
        .value_kind:     hidden_global_offset_z
      - .offset:         192
        .size:           2
        .value_kind:     hidden_grid_dims
    .group_segment_fixed_size: 0
    .kernarg_segment_align: 8
    .kernarg_segment_size: 384
    .language:       OpenCL C
    .language_version:
      - 2
      - 0
    .max_flat_workgroup_size: 1024
    .name:           _ZL10k_get_rowsILi128ELi1EXadL_ZL15dequantize_q1_0PKvliR15HIP_vector_typeIfLj2EEEEiEvS1_PKiPT2_llS2_IjLj3EEmmmmmmmmm
    .private_segment_fixed_size: 0
    .sgpr_count:     58
    .sgpr_spill_count: 0
    .symbol:         _ZL10k_get_rowsILi128ELi1EXadL_ZL15dequantize_q1_0PKvliR15HIP_vector_typeIfLj2EEEEiEvS1_PKiPT2_llS2_IjLj3EEmmmmmmmmm.kd
    .uniform_work_group_size: 1
    .uses_dynamic_stack: false
    .vgpr_count:     23
    .vgpr_spill_count: 0
    .wavefront_size: 32
  - .args:
      - .actual_access:  read_only
        .address_space:  global
        .offset:         0
        .size:           8
        .value_kind:     global_buffer
      - .actual_access:  read_only
        .address_space:  global
        .offset:         8
        .size:           8
        .value_kind:     global_buffer
      - .actual_access:  write_only
        .address_space:  global
        .offset:         16
        .size:           8
        .value_kind:     global_buffer
      - .offset:         24
        .size:           8
        .value_kind:     by_value
      - .offset:         32
        .size:           8
        .value_kind:     by_value
      - .offset:         40
        .size:           12
        .value_kind:     by_value
      - .offset:         56
        .size:           8
        .value_kind:     by_value
      - .offset:         64
        .size:           8
        .value_kind:     by_value
      - .offset:         72
        .size:           8
        .value_kind:     by_value
      - .offset:         80
        .size:           8
        .value_kind:     by_value
      - .offset:         88
        .size:           8
        .value_kind:     by_value
      - .offset:         96
        .size:           8
        .value_kind:     by_value
      - .offset:         104
        .size:           8
        .value_kind:     by_value
      - .offset:         112
        .size:           8
        .value_kind:     by_value
      - .offset:         120
        .size:           8
        .value_kind:     by_value
      - .offset:         128
        .size:           4
        .value_kind:     hidden_block_count_x
      - .offset:         132
        .size:           4
        .value_kind:     hidden_block_count_y
      - .offset:         136
        .size:           4
        .value_kind:     hidden_block_count_z
      - .offset:         140
        .size:           2
        .value_kind:     hidden_group_size_x
      - .offset:         142
        .size:           2
        .value_kind:     hidden_group_size_y
      - .offset:         144
        .size:           2
        .value_kind:     hidden_group_size_z
      - .offset:         146
        .size:           2
        .value_kind:     hidden_remainder_x
      - .offset:         148
        .size:           2
        .value_kind:     hidden_remainder_y
      - .offset:         150
        .size:           2
        .value_kind:     hidden_remainder_z
      - .offset:         168
        .size:           8
        .value_kind:     hidden_global_offset_x
      - .offset:         176
        .size:           8
        .value_kind:     hidden_global_offset_y
      - .offset:         184
        .size:           8
        .value_kind:     hidden_global_offset_z
      - .offset:         192
        .size:           2
        .value_kind:     hidden_grid_dims
    .group_segment_fixed_size: 0
    .kernarg_segment_align: 8
    .kernarg_segment_size: 384
    .language:       OpenCL C
    .language_version:
      - 2
      - 0
    .max_flat_workgroup_size: 1024
    .name:           _ZL10k_get_rowsILi32ELi2EXadL_ZL15dequantize_q4_0PKvliR15HIP_vector_typeIfLj2EEEEiEvS1_PKiPT2_llS2_IjLj3EEmmmmmmmmm
    .private_segment_fixed_size: 0
    .sgpr_count:     56
    .sgpr_spill_count: 0
    .symbol:         _ZL10k_get_rowsILi32ELi2EXadL_ZL15dequantize_q4_0PKvliR15HIP_vector_typeIfLj2EEEEiEvS1_PKiPT2_llS2_IjLj3EEmmmmmmmmm.kd
    .uniform_work_group_size: 1
    .uses_dynamic_stack: false
    .vgpr_count:     16
    .vgpr_spill_count: 0
    .wavefront_size: 32
  - .args:
      - .actual_access:  read_only
        .address_space:  global
        .offset:         0
        .size:           8
        .value_kind:     global_buffer
      - .actual_access:  read_only
        .address_space:  global
        .offset:         8
        .size:           8
        .value_kind:     global_buffer
      - .actual_access:  write_only
        .address_space:  global
        .offset:         16
        .size:           8
        .value_kind:     global_buffer
      - .offset:         24
        .size:           8
        .value_kind:     by_value
      - .offset:         32
        .size:           8
        .value_kind:     by_value
      - .offset:         40
        .size:           12
        .value_kind:     by_value
      - .offset:         56
        .size:           8
        .value_kind:     by_value
      - .offset:         64
        .size:           8
        .value_kind:     by_value
      - .offset:         72
        .size:           8
        .value_kind:     by_value
      - .offset:         80
        .size:           8
        .value_kind:     by_value
      - .offset:         88
        .size:           8
        .value_kind:     by_value
      - .offset:         96
        .size:           8
        .value_kind:     by_value
      - .offset:         104
        .size:           8
        .value_kind:     by_value
      - .offset:         112
        .size:           8
        .value_kind:     by_value
      - .offset:         120
        .size:           8
        .value_kind:     by_value
      - .offset:         128
        .size:           4
        .value_kind:     hidden_block_count_x
      - .offset:         132
        .size:           4
        .value_kind:     hidden_block_count_y
      - .offset:         136
        .size:           4
        .value_kind:     hidden_block_count_z
      - .offset:         140
        .size:           2
        .value_kind:     hidden_group_size_x
      - .offset:         142
        .size:           2
        .value_kind:     hidden_group_size_y
      - .offset:         144
        .size:           2
        .value_kind:     hidden_group_size_z
      - .offset:         146
        .size:           2
        .value_kind:     hidden_remainder_x
      - .offset:         148
        .size:           2
        .value_kind:     hidden_remainder_y
      - .offset:         150
        .size:           2
        .value_kind:     hidden_remainder_z
      - .offset:         168
        .size:           8
        .value_kind:     hidden_global_offset_x
      - .offset:         176
        .size:           8
        .value_kind:     hidden_global_offset_y
      - .offset:         184
        .size:           8
        .value_kind:     hidden_global_offset_z
      - .offset:         192
        .size:           2
        .value_kind:     hidden_grid_dims
    .group_segment_fixed_size: 0
    .kernarg_segment_align: 8
    .kernarg_segment_size: 384
    .language:       OpenCL C
    .language_version:
      - 2
      - 0
    .max_flat_workgroup_size: 1024
    .name:           _ZL10k_get_rowsILi32ELi2EXadL_ZL15dequantize_q4_1PKvliR15HIP_vector_typeIfLj2EEEEiEvS1_PKiPT2_llS2_IjLj3EEmmmmmmmmm
    .private_segment_fixed_size: 0
    .sgpr_count:     56
    .sgpr_spill_count: 0
    .symbol:         _ZL10k_get_rowsILi32ELi2EXadL_ZL15dequantize_q4_1PKvliR15HIP_vector_typeIfLj2EEEEiEvS1_PKiPT2_llS2_IjLj3EEmmmmmmmmm.kd
    .uniform_work_group_size: 1
    .uses_dynamic_stack: false
    .vgpr_count:     16
    .vgpr_spill_count: 0
    .wavefront_size: 32
  - .args:
      - .actual_access:  read_only
        .address_space:  global
        .offset:         0
        .size:           8
        .value_kind:     global_buffer
      - .actual_access:  read_only
        .address_space:  global
        .offset:         8
        .size:           8
        .value_kind:     global_buffer
      - .actual_access:  write_only
        .address_space:  global
        .offset:         16
        .size:           8
        .value_kind:     global_buffer
      - .offset:         24
        .size:           8
        .value_kind:     by_value
      - .offset:         32
        .size:           8
        .value_kind:     by_value
      - .offset:         40
        .size:           12
        .value_kind:     by_value
      - .offset:         56
        .size:           8
        .value_kind:     by_value
      - .offset:         64
        .size:           8
        .value_kind:     by_value
      - .offset:         72
        .size:           8
        .value_kind:     by_value
      - .offset:         80
        .size:           8
        .value_kind:     by_value
      - .offset:         88
        .size:           8
        .value_kind:     by_value
      - .offset:         96
        .size:           8
        .value_kind:     by_value
      - .offset:         104
        .size:           8
        .value_kind:     by_value
      - .offset:         112
        .size:           8
        .value_kind:     by_value
      - .offset:         120
        .size:           8
        .value_kind:     by_value
      - .offset:         128
        .size:           4
        .value_kind:     hidden_block_count_x
      - .offset:         132
        .size:           4
        .value_kind:     hidden_block_count_y
      - .offset:         136
        .size:           4
        .value_kind:     hidden_block_count_z
      - .offset:         140
        .size:           2
        .value_kind:     hidden_group_size_x
      - .offset:         142
        .size:           2
        .value_kind:     hidden_group_size_y
      - .offset:         144
        .size:           2
        .value_kind:     hidden_group_size_z
      - .offset:         146
        .size:           2
        .value_kind:     hidden_remainder_x
      - .offset:         148
        .size:           2
        .value_kind:     hidden_remainder_y
      - .offset:         150
        .size:           2
        .value_kind:     hidden_remainder_z
      - .offset:         168
        .size:           8
        .value_kind:     hidden_global_offset_x
      - .offset:         176
        .size:           8
        .value_kind:     hidden_global_offset_y
      - .offset:         184
        .size:           8
        .value_kind:     hidden_global_offset_z
      - .offset:         192
        .size:           2
        .value_kind:     hidden_grid_dims
    .group_segment_fixed_size: 0
    .kernarg_segment_align: 8
    .kernarg_segment_size: 384
    .language:       OpenCL C
    .language_version:
      - 2
      - 0
    .max_flat_workgroup_size: 1024
    .name:           _ZL10k_get_rowsILi32ELi2EXadL_ZL15dequantize_q5_0PKvliR15HIP_vector_typeIfLj2EEEEiEvS1_PKiPT2_llS2_IjLj3EEmmmmmmmmm
    .private_segment_fixed_size: 0
    .sgpr_count:     56
    .sgpr_spill_count: 0
    .symbol:         _ZL10k_get_rowsILi32ELi2EXadL_ZL15dequantize_q5_0PKvliR15HIP_vector_typeIfLj2EEEEiEvS1_PKiPT2_llS2_IjLj3EEmmmmmmmmm.kd
    .uniform_work_group_size: 1
    .uses_dynamic_stack: false
    .vgpr_count:     17
    .vgpr_spill_count: 0
    .wavefront_size: 32
  - .args:
      - .actual_access:  read_only
        .address_space:  global
        .offset:         0
        .size:           8
        .value_kind:     global_buffer
      - .actual_access:  read_only
        .address_space:  global
        .offset:         8
        .size:           8
        .value_kind:     global_buffer
      - .actual_access:  write_only
        .address_space:  global
        .offset:         16
        .size:           8
        .value_kind:     global_buffer
      - .offset:         24
        .size:           8
        .value_kind:     by_value
      - .offset:         32
        .size:           8
        .value_kind:     by_value
      - .offset:         40
        .size:           12
        .value_kind:     by_value
      - .offset:         56
        .size:           8
        .value_kind:     by_value
      - .offset:         64
        .size:           8
        .value_kind:     by_value
      - .offset:         72
        .size:           8
        .value_kind:     by_value
      - .offset:         80
        .size:           8
        .value_kind:     by_value
      - .offset:         88
        .size:           8
        .value_kind:     by_value
      - .offset:         96
        .size:           8
        .value_kind:     by_value
      - .offset:         104
        .size:           8
        .value_kind:     by_value
      - .offset:         112
        .size:           8
        .value_kind:     by_value
      - .offset:         120
        .size:           8
        .value_kind:     by_value
      - .offset:         128
        .size:           4
        .value_kind:     hidden_block_count_x
      - .offset:         132
        .size:           4
        .value_kind:     hidden_block_count_y
      - .offset:         136
        .size:           4
        .value_kind:     hidden_block_count_z
      - .offset:         140
        .size:           2
        .value_kind:     hidden_group_size_x
      - .offset:         142
        .size:           2
        .value_kind:     hidden_group_size_y
      - .offset:         144
        .size:           2
        .value_kind:     hidden_group_size_z
      - .offset:         146
        .size:           2
        .value_kind:     hidden_remainder_x
      - .offset:         148
        .size:           2
        .value_kind:     hidden_remainder_y
      - .offset:         150
        .size:           2
        .value_kind:     hidden_remainder_z
      - .offset:         168
        .size:           8
        .value_kind:     hidden_global_offset_x
      - .offset:         176
        .size:           8
        .value_kind:     hidden_global_offset_y
      - .offset:         184
        .size:           8
        .value_kind:     hidden_global_offset_z
      - .offset:         192
        .size:           2
        .value_kind:     hidden_grid_dims
    .group_segment_fixed_size: 0
    .kernarg_segment_align: 8
    .kernarg_segment_size: 384
    .language:       OpenCL C
    .language_version:
      - 2
      - 0
    .max_flat_workgroup_size: 1024
    .name:           _ZL10k_get_rowsILi32ELi2EXadL_ZL15dequantize_q5_1PKvliR15HIP_vector_typeIfLj2EEEEiEvS1_PKiPT2_llS2_IjLj3EEmmmmmmmmm
    .private_segment_fixed_size: 0
    .sgpr_count:     56
    .sgpr_spill_count: 0
    .symbol:         _ZL10k_get_rowsILi32ELi2EXadL_ZL15dequantize_q5_1PKvliR15HIP_vector_typeIfLj2EEEEiEvS1_PKiPT2_llS2_IjLj3EEmmmmmmmmm.kd
    .uniform_work_group_size: 1
    .uses_dynamic_stack: false
    .vgpr_count:     17
    .vgpr_spill_count: 0
    .wavefront_size: 32
  - .args:
      - .actual_access:  read_only
        .address_space:  global
        .offset:         0
        .size:           8
        .value_kind:     global_buffer
      - .actual_access:  read_only
        .address_space:  global
        .offset:         8
        .size:           8
        .value_kind:     global_buffer
      - .actual_access:  write_only
        .address_space:  global
        .offset:         16
        .size:           8
        .value_kind:     global_buffer
      - .offset:         24
        .size:           8
        .value_kind:     by_value
      - .offset:         32
        .size:           8
        .value_kind:     by_value
      - .offset:         40
        .size:           12
        .value_kind:     by_value
      - .offset:         56
        .size:           8
        .value_kind:     by_value
      - .offset:         64
        .size:           8
        .value_kind:     by_value
      - .offset:         72
        .size:           8
        .value_kind:     by_value
      - .offset:         80
        .size:           8
        .value_kind:     by_value
      - .offset:         88
        .size:           8
        .value_kind:     by_value
      - .offset:         96
        .size:           8
        .value_kind:     by_value
      - .offset:         104
        .size:           8
        .value_kind:     by_value
      - .offset:         112
        .size:           8
        .value_kind:     by_value
      - .offset:         120
        .size:           8
        .value_kind:     by_value
      - .offset:         128
        .size:           4
        .value_kind:     hidden_block_count_x
      - .offset:         132
        .size:           4
        .value_kind:     hidden_block_count_y
      - .offset:         136
        .size:           4
        .value_kind:     hidden_block_count_z
      - .offset:         140
        .size:           2
        .value_kind:     hidden_group_size_x
      - .offset:         142
        .size:           2
        .value_kind:     hidden_group_size_y
      - .offset:         144
        .size:           2
        .value_kind:     hidden_group_size_z
      - .offset:         146
        .size:           2
        .value_kind:     hidden_remainder_x
      - .offset:         148
        .size:           2
        .value_kind:     hidden_remainder_y
      - .offset:         150
        .size:           2
        .value_kind:     hidden_remainder_z
      - .offset:         168
        .size:           8
        .value_kind:     hidden_global_offset_x
      - .offset:         176
        .size:           8
        .value_kind:     hidden_global_offset_y
      - .offset:         184
        .size:           8
        .value_kind:     hidden_global_offset_z
      - .offset:         192
        .size:           2
        .value_kind:     hidden_grid_dims
    .group_segment_fixed_size: 0
    .kernarg_segment_align: 8
    .kernarg_segment_size: 384
    .language:       OpenCL C
    .language_version:
      - 2
      - 0
    .max_flat_workgroup_size: 1024
    .name:           _ZL10k_get_rowsILi32ELi1EXadL_ZL15dequantize_q8_0PKvliR15HIP_vector_typeIfLj2EEEEiEvS1_PKiPT2_llS2_IjLj3EEmmmmmmmmm
    .private_segment_fixed_size: 0
    .sgpr_count:     58
    .sgpr_spill_count: 0
    .symbol:         _ZL10k_get_rowsILi32ELi1EXadL_ZL15dequantize_q8_0PKvliR15HIP_vector_typeIfLj2EEEEiEvS1_PKiPT2_llS2_IjLj3EEmmmmmmmmm.kd
    .uniform_work_group_size: 1
    .uses_dynamic_stack: false
    .vgpr_count:     19
    .vgpr_spill_count: 0
    .wavefront_size: 32
  - .args:
      - .address_space:  global
        .offset:         0
        .size:           8
        .value_kind:     global_buffer
      - .address_space:  global
        .offset:         8
        .size:           8
        .value_kind:     global_buffer
      - .address_space:  global
        .offset:         16
        .size:           8
        .value_kind:     global_buffer
      - .offset:         24
        .size:           8
        .value_kind:     by_value
      - .offset:         32
        .size:           8
        .value_kind:     by_value
      - .offset:         40
        .size:           12
        .value_kind:     by_value
      - .offset:         56
        .size:           8
        .value_kind:     by_value
      - .offset:         64
        .size:           8
        .value_kind:     by_value
      - .offset:         72
        .size:           8
        .value_kind:     by_value
      - .offset:         80
        .size:           8
        .value_kind:     by_value
      - .offset:         88
        .size:           8
        .value_kind:     by_value
      - .offset:         96
        .size:           8
        .value_kind:     by_value
      - .offset:         104
        .size:           8
        .value_kind:     by_value
      - .offset:         112
        .size:           8
        .value_kind:     by_value
      - .offset:         120
        .size:           8
        .value_kind:     by_value
      - .offset:         128
        .size:           4
        .value_kind:     hidden_block_count_x
      - .offset:         132
        .size:           4
        .value_kind:     hidden_block_count_y
      - .offset:         136
        .size:           4
        .value_kind:     hidden_block_count_z
      - .offset:         140
        .size:           2
        .value_kind:     hidden_group_size_x
      - .offset:         142
        .size:           2
        .value_kind:     hidden_group_size_y
      - .offset:         144
        .size:           2
        .value_kind:     hidden_group_size_z
      - .offset:         146
        .size:           2
        .value_kind:     hidden_remainder_x
      - .offset:         148
        .size:           2
        .value_kind:     hidden_remainder_y
      - .offset:         150
        .size:           2
        .value_kind:     hidden_remainder_z
      - .offset:         168
        .size:           8
        .value_kind:     hidden_global_offset_x
      - .offset:         176
        .size:           8
        .value_kind:     hidden_global_offset_y
      - .offset:         184
        .size:           8
        .value_kind:     hidden_global_offset_z
      - .offset:         192
        .size:           2
        .value_kind:     hidden_grid_dims
    .group_segment_fixed_size: 0
    .kernarg_segment_align: 8
    .kernarg_segment_size: 384
    .language:       OpenCL C
    .language_version:
      - 2
      - 0
    .max_flat_workgroup_size: 1024
    .name:           _ZL16k_get_rows_floatI6__halfS0_EvPKT_PKiPT0_ll15HIP_vector_typeIjLj3EEmmmmmmmmm
    .private_segment_fixed_size: 0
    .sgpr_count:     52
    .sgpr_spill_count: 0
    .symbol:         _ZL16k_get_rows_floatI6__halfS0_EvPKT_PKiPT0_ll15HIP_vector_typeIjLj3EEmmmmmmmmm.kd
    .uniform_work_group_size: 1
    .uses_dynamic_stack: false
    .vgpr_count:     15
    .vgpr_spill_count: 0
    .wavefront_size: 32
  - .args:
      - .address_space:  global
        .offset:         0
        .size:           8
        .value_kind:     global_buffer
      - .address_space:  global
        .offset:         8
        .size:           8
        .value_kind:     global_buffer
      - .address_space:  global
        .offset:         16
        .size:           8
        .value_kind:     global_buffer
      - .offset:         24
        .size:           8
        .value_kind:     by_value
      - .offset:         32
        .size:           8
        .value_kind:     by_value
      - .offset:         40
        .size:           12
        .value_kind:     by_value
      - .offset:         56
        .size:           8
        .value_kind:     by_value
      - .offset:         64
        .size:           8
        .value_kind:     by_value
      - .offset:         72
        .size:           8
        .value_kind:     by_value
      - .offset:         80
        .size:           8
        .value_kind:     by_value
      - .offset:         88
        .size:           8
        .value_kind:     by_value
      - .offset:         96
        .size:           8
        .value_kind:     by_value
      - .offset:         104
        .size:           8
        .value_kind:     by_value
      - .offset:         112
        .size:           8
        .value_kind:     by_value
      - .offset:         120
        .size:           8
        .value_kind:     by_value
      - .offset:         128
        .size:           4
        .value_kind:     hidden_block_count_x
      - .offset:         132
        .size:           4
        .value_kind:     hidden_block_count_y
      - .offset:         136
        .size:           4
        .value_kind:     hidden_block_count_z
      - .offset:         140
        .size:           2
        .value_kind:     hidden_group_size_x
      - .offset:         142
        .size:           2
        .value_kind:     hidden_group_size_y
      - .offset:         144
        .size:           2
        .value_kind:     hidden_group_size_z
      - .offset:         146
        .size:           2
        .value_kind:     hidden_remainder_x
      - .offset:         148
        .size:           2
        .value_kind:     hidden_remainder_y
      - .offset:         150
        .size:           2
        .value_kind:     hidden_remainder_z
      - .offset:         168
        .size:           8
        .value_kind:     hidden_global_offset_x
      - .offset:         176
        .size:           8
        .value_kind:     hidden_global_offset_y
      - .offset:         184
        .size:           8
        .value_kind:     hidden_global_offset_z
      - .offset:         192
        .size:           2
        .value_kind:     hidden_grid_dims
    .group_segment_fixed_size: 0
    .kernarg_segment_align: 8
    .kernarg_segment_size: 384
    .language:       OpenCL C
    .language_version:
      - 2
      - 0
    .max_flat_workgroup_size: 1024
    .name:           _ZL16k_get_rows_floatIf6__halfEvPKT_PKiPT0_ll15HIP_vector_typeIjLj3EEmmmmmmmmm
    .private_segment_fixed_size: 0
    .sgpr_count:     52
    .sgpr_spill_count: 0
    .symbol:         _ZL16k_get_rows_floatIf6__halfEvPKT_PKiPT0_ll15HIP_vector_typeIjLj3EEmmmmmmmmm.kd
    .uniform_work_group_size: 1
    .uses_dynamic_stack: false
    .vgpr_count:     16
    .vgpr_spill_count: 0
    .wavefront_size: 32
  - .args:
      - .address_space:  global
        .offset:         0
        .size:           8
        .value_kind:     global_buffer
      - .address_space:  global
        .offset:         8
        .size:           8
        .value_kind:     global_buffer
      - .address_space:  global
        .offset:         16
        .size:           8
        .value_kind:     global_buffer
      - .offset:         24
        .size:           8
        .value_kind:     by_value
      - .offset:         32
        .size:           8
        .value_kind:     by_value
      - .offset:         40
        .size:           12
        .value_kind:     by_value
      - .offset:         56
        .size:           8
        .value_kind:     by_value
      - .offset:         64
        .size:           8
        .value_kind:     by_value
      - .offset:         72
        .size:           8
        .value_kind:     by_value
      - .offset:         80
        .size:           8
        .value_kind:     by_value
      - .offset:         88
        .size:           8
        .value_kind:     by_value
      - .offset:         96
        .size:           8
        .value_kind:     by_value
      - .offset:         104
        .size:           8
        .value_kind:     by_value
      - .offset:         112
        .size:           8
        .value_kind:     by_value
      - .offset:         120
        .size:           8
        .value_kind:     by_value
      - .offset:         128
        .size:           4
        .value_kind:     hidden_block_count_x
      - .offset:         132
        .size:           4
        .value_kind:     hidden_block_count_y
      - .offset:         136
        .size:           4
        .value_kind:     hidden_block_count_z
      - .offset:         140
        .size:           2
        .value_kind:     hidden_group_size_x
      - .offset:         142
        .size:           2
        .value_kind:     hidden_group_size_y
      - .offset:         144
        .size:           2
        .value_kind:     hidden_group_size_z
      - .offset:         146
        .size:           2
        .value_kind:     hidden_remainder_x
      - .offset:         148
        .size:           2
        .value_kind:     hidden_remainder_y
      - .offset:         150
        .size:           2
        .value_kind:     hidden_remainder_z
      - .offset:         168
        .size:           8
        .value_kind:     hidden_global_offset_x
      - .offset:         176
        .size:           8
        .value_kind:     hidden_global_offset_y
      - .offset:         184
        .size:           8
        .value_kind:     hidden_global_offset_z
      - .offset:         192
        .size:           2
        .value_kind:     hidden_grid_dims
    .group_segment_fixed_size: 0
    .kernarg_segment_align: 8
    .kernarg_segment_size: 384
    .language:       OpenCL C
    .language_version:
      - 2
      - 0
    .max_flat_workgroup_size: 1024
    .name:           _ZL16k_get_rows_floatIi6__halfEvPKT_PKiPT0_ll15HIP_vector_typeIjLj3EEmmmmmmmmm
    .private_segment_fixed_size: 0
    .sgpr_count:     52
    .sgpr_spill_count: 0
    .symbol:         _ZL16k_get_rows_floatIi6__halfEvPKT_PKiPT0_ll15HIP_vector_typeIjLj3EEmmmmmmmmm.kd
    .uniform_work_group_size: 1
    .uses_dynamic_stack: false
    .vgpr_count:     16
    .vgpr_spill_count: 0
    .wavefront_size: 32
  - .args:
      - .address_space:  global
        .offset:         0
        .size:           8
        .value_kind:     global_buffer
      - .address_space:  global
        .offset:         8
        .size:           8
        .value_kind:     global_buffer
      - .address_space:  global
        .offset:         16
        .size:           8
        .value_kind:     global_buffer
      - .offset:         24
        .size:           8
        .value_kind:     by_value
      - .offset:         32
        .size:           8
        .value_kind:     by_value
      - .offset:         40
        .size:           12
        .value_kind:     by_value
      - .offset:         56
        .size:           8
        .value_kind:     by_value
      - .offset:         64
        .size:           8
        .value_kind:     by_value
      - .offset:         72
        .size:           8
        .value_kind:     by_value
      - .offset:         80
        .size:           8
        .value_kind:     by_value
      - .offset:         88
        .size:           8
        .value_kind:     by_value
      - .offset:         96
        .size:           8
        .value_kind:     by_value
      - .offset:         104
        .size:           8
        .value_kind:     by_value
      - .offset:         112
        .size:           8
        .value_kind:     by_value
      - .offset:         120
        .size:           8
        .value_kind:     by_value
      - .offset:         128
        .size:           4
        .value_kind:     hidden_block_count_x
      - .offset:         132
        .size:           4
        .value_kind:     hidden_block_count_y
      - .offset:         136
        .size:           4
        .value_kind:     hidden_block_count_z
      - .offset:         140
        .size:           2
        .value_kind:     hidden_group_size_x
      - .offset:         142
        .size:           2
        .value_kind:     hidden_group_size_y
      - .offset:         144
        .size:           2
        .value_kind:     hidden_group_size_z
      - .offset:         146
        .size:           2
        .value_kind:     hidden_remainder_x
      - .offset:         148
        .size:           2
        .value_kind:     hidden_remainder_y
      - .offset:         150
        .size:           2
        .value_kind:     hidden_remainder_z
      - .offset:         168
        .size:           8
        .value_kind:     hidden_global_offset_x
      - .offset:         176
        .size:           8
        .value_kind:     hidden_global_offset_y
      - .offset:         184
        .size:           8
        .value_kind:     hidden_global_offset_z
      - .offset:         192
        .size:           2
        .value_kind:     hidden_grid_dims
    .group_segment_fixed_size: 0
    .kernarg_segment_align: 8
    .kernarg_segment_size: 384
    .language:       OpenCL C
    .language_version:
      - 2
      - 0
    .max_flat_workgroup_size: 1024
    .name:           _ZL16k_get_rows_floatI14__hip_bfloat166__halfEvPKT_PKiPT0_ll15HIP_vector_typeIjLj3EEmmmmmmmmm
    .private_segment_fixed_size: 0
    .sgpr_count:     52
    .sgpr_spill_count: 0
    .symbol:         _ZL16k_get_rows_floatI14__hip_bfloat166__halfEvPKT_PKiPT0_ll15HIP_vector_typeIjLj3EEmmmmmmmmm.kd
    .uniform_work_group_size: 1
    .uses_dynamic_stack: false
    .vgpr_count:     15
    .vgpr_spill_count: 0
    .wavefront_size: 32
  - .args:
      - .actual_access:  read_only
        .address_space:  global
        .offset:         0
        .size:           8
        .value_kind:     global_buffer
      - .actual_access:  read_only
        .address_space:  global
        .offset:         8
        .size:           8
        .value_kind:     global_buffer
      - .actual_access:  write_only
        .address_space:  global
        .offset:         16
        .size:           8
        .value_kind:     global_buffer
      - .offset:         24
        .size:           8
        .value_kind:     by_value
      - .offset:         32
        .size:           8
        .value_kind:     by_value
      - .offset:         40
        .size:           12
        .value_kind:     by_value
      - .offset:         56
        .size:           8
        .value_kind:     by_value
      - .offset:         64
        .size:           8
        .value_kind:     by_value
      - .offset:         72
        .size:           8
        .value_kind:     by_value
      - .offset:         80
        .size:           8
        .value_kind:     by_value
      - .offset:         88
        .size:           8
        .value_kind:     by_value
      - .offset:         96
        .size:           8
        .value_kind:     by_value
      - .offset:         104
        .size:           8
        .value_kind:     by_value
      - .offset:         112
        .size:           8
        .value_kind:     by_value
      - .offset:         120
        .size:           8
        .value_kind:     by_value
      - .offset:         128
        .size:           4
        .value_kind:     hidden_block_count_x
      - .offset:         132
        .size:           4
        .value_kind:     hidden_block_count_y
      - .offset:         136
        .size:           4
        .value_kind:     hidden_block_count_z
      - .offset:         140
        .size:           2
        .value_kind:     hidden_group_size_x
      - .offset:         142
        .size:           2
        .value_kind:     hidden_group_size_y
      - .offset:         144
        .size:           2
        .value_kind:     hidden_group_size_z
      - .offset:         146
        .size:           2
        .value_kind:     hidden_remainder_x
      - .offset:         148
        .size:           2
        .value_kind:     hidden_remainder_y
      - .offset:         150
        .size:           2
        .value_kind:     hidden_remainder_z
      - .offset:         168
        .size:           8
        .value_kind:     hidden_global_offset_x
      - .offset:         176
        .size:           8
        .value_kind:     hidden_global_offset_y
      - .offset:         184
        .size:           8
        .value_kind:     hidden_global_offset_z
      - .offset:         192
        .size:           2
        .value_kind:     hidden_grid_dims
    .group_segment_fixed_size: 0
    .kernarg_segment_align: 8
    .kernarg_segment_size: 384
    .language:       OpenCL C
    .language_version:
      - 2
      - 0
    .max_flat_workgroup_size: 1024
    .name:           _ZL10k_get_rowsILi128ELi1EXadL_ZL15dequantize_q1_0PKvliR15HIP_vector_typeIfLj2EEEE6__halfEvS1_PKiPT2_llS2_IjLj3EEmmmmmmmmm
    .private_segment_fixed_size: 0
    .sgpr_count:     58
    .sgpr_spill_count: 0
    .symbol:         _ZL10k_get_rowsILi128ELi1EXadL_ZL15dequantize_q1_0PKvliR15HIP_vector_typeIfLj2EEEE6__halfEvS1_PKiPT2_llS2_IjLj3EEmmmmmmmmm.kd
    .uniform_work_group_size: 1
    .uses_dynamic_stack: false
    .vgpr_count:     23
    .vgpr_spill_count: 0
    .wavefront_size: 32
  - .args:
      - .actual_access:  read_only
        .address_space:  global
        .offset:         0
        .size:           8
        .value_kind:     global_buffer
      - .actual_access:  read_only
        .address_space:  global
        .offset:         8
        .size:           8
        .value_kind:     global_buffer
      - .actual_access:  write_only
        .address_space:  global
        .offset:         16
        .size:           8
        .value_kind:     global_buffer
      - .offset:         24
        .size:           8
        .value_kind:     by_value
      - .offset:         32
        .size:           8
        .value_kind:     by_value
      - .offset:         40
        .size:           12
        .value_kind:     by_value
      - .offset:         56
        .size:           8
        .value_kind:     by_value
      - .offset:         64
        .size:           8
        .value_kind:     by_value
      - .offset:         72
        .size:           8
        .value_kind:     by_value
      - .offset:         80
        .size:           8
        .value_kind:     by_value
      - .offset:         88
        .size:           8
        .value_kind:     by_value
      - .offset:         96
        .size:           8
        .value_kind:     by_value
      - .offset:         104
        .size:           8
        .value_kind:     by_value
      - .offset:         112
        .size:           8
        .value_kind:     by_value
      - .offset:         120
        .size:           8
        .value_kind:     by_value
      - .offset:         128
        .size:           4
        .value_kind:     hidden_block_count_x
      - .offset:         132
        .size:           4
        .value_kind:     hidden_block_count_y
      - .offset:         136
        .size:           4
        .value_kind:     hidden_block_count_z
      - .offset:         140
        .size:           2
        .value_kind:     hidden_group_size_x
      - .offset:         142
        .size:           2
        .value_kind:     hidden_group_size_y
      - .offset:         144
        .size:           2
        .value_kind:     hidden_group_size_z
      - .offset:         146
        .size:           2
        .value_kind:     hidden_remainder_x
      - .offset:         148
        .size:           2
        .value_kind:     hidden_remainder_y
      - .offset:         150
        .size:           2
        .value_kind:     hidden_remainder_z
      - .offset:         168
        .size:           8
        .value_kind:     hidden_global_offset_x
      - .offset:         176
        .size:           8
        .value_kind:     hidden_global_offset_y
      - .offset:         184
        .size:           8
        .value_kind:     hidden_global_offset_z
      - .offset:         192
        .size:           2
        .value_kind:     hidden_grid_dims
    .group_segment_fixed_size: 0
    .kernarg_segment_align: 8
    .kernarg_segment_size: 384
    .language:       OpenCL C
    .language_version:
      - 2
      - 0
    .max_flat_workgroup_size: 1024
    .name:           _ZL10k_get_rowsILi32ELi2EXadL_ZL15dequantize_q4_0PKvliR15HIP_vector_typeIfLj2EEEE6__halfEvS1_PKiPT2_llS2_IjLj3EEmmmmmmmmm
    .private_segment_fixed_size: 0
    .sgpr_count:     56
    .sgpr_spill_count: 0
    .symbol:         _ZL10k_get_rowsILi32ELi2EXadL_ZL15dequantize_q4_0PKvliR15HIP_vector_typeIfLj2EEEE6__halfEvS1_PKiPT2_llS2_IjLj3EEmmmmmmmmm.kd
    .uniform_work_group_size: 1
    .uses_dynamic_stack: false
    .vgpr_count:     16
    .vgpr_spill_count: 0
    .wavefront_size: 32
  - .args:
      - .actual_access:  read_only
        .address_space:  global
        .offset:         0
        .size:           8
        .value_kind:     global_buffer
      - .actual_access:  read_only
        .address_space:  global
        .offset:         8
        .size:           8
        .value_kind:     global_buffer
      - .actual_access:  write_only
        .address_space:  global
        .offset:         16
        .size:           8
        .value_kind:     global_buffer
      - .offset:         24
        .size:           8
        .value_kind:     by_value
      - .offset:         32
        .size:           8
        .value_kind:     by_value
      - .offset:         40
        .size:           12
        .value_kind:     by_value
      - .offset:         56
        .size:           8
        .value_kind:     by_value
      - .offset:         64
        .size:           8
        .value_kind:     by_value
      - .offset:         72
        .size:           8
        .value_kind:     by_value
      - .offset:         80
        .size:           8
        .value_kind:     by_value
      - .offset:         88
        .size:           8
        .value_kind:     by_value
      - .offset:         96
        .size:           8
        .value_kind:     by_value
      - .offset:         104
        .size:           8
        .value_kind:     by_value
      - .offset:         112
        .size:           8
        .value_kind:     by_value
      - .offset:         120
        .size:           8
        .value_kind:     by_value
      - .offset:         128
        .size:           4
        .value_kind:     hidden_block_count_x
      - .offset:         132
        .size:           4
        .value_kind:     hidden_block_count_y
      - .offset:         136
        .size:           4
        .value_kind:     hidden_block_count_z
      - .offset:         140
        .size:           2
        .value_kind:     hidden_group_size_x
      - .offset:         142
        .size:           2
        .value_kind:     hidden_group_size_y
      - .offset:         144
        .size:           2
        .value_kind:     hidden_group_size_z
      - .offset:         146
        .size:           2
        .value_kind:     hidden_remainder_x
      - .offset:         148
        .size:           2
        .value_kind:     hidden_remainder_y
      - .offset:         150
        .size:           2
        .value_kind:     hidden_remainder_z
      - .offset:         168
        .size:           8
        .value_kind:     hidden_global_offset_x
      - .offset:         176
        .size:           8
        .value_kind:     hidden_global_offset_y
      - .offset:         184
        .size:           8
        .value_kind:     hidden_global_offset_z
      - .offset:         192
        .size:           2
        .value_kind:     hidden_grid_dims
    .group_segment_fixed_size: 0
    .kernarg_segment_align: 8
    .kernarg_segment_size: 384
    .language:       OpenCL C
    .language_version:
      - 2
      - 0
    .max_flat_workgroup_size: 1024
    .name:           _ZL10k_get_rowsILi32ELi2EXadL_ZL15dequantize_q4_1PKvliR15HIP_vector_typeIfLj2EEEE6__halfEvS1_PKiPT2_llS2_IjLj3EEmmmmmmmmm
    .private_segment_fixed_size: 0
    .sgpr_count:     56
    .sgpr_spill_count: 0
    .symbol:         _ZL10k_get_rowsILi32ELi2EXadL_ZL15dequantize_q4_1PKvliR15HIP_vector_typeIfLj2EEEE6__halfEvS1_PKiPT2_llS2_IjLj3EEmmmmmmmmm.kd
    .uniform_work_group_size: 1
    .uses_dynamic_stack: false
    .vgpr_count:     16
    .vgpr_spill_count: 0
    .wavefront_size: 32
  - .args:
      - .actual_access:  read_only
        .address_space:  global
        .offset:         0
        .size:           8
        .value_kind:     global_buffer
      - .actual_access:  read_only
        .address_space:  global
        .offset:         8
        .size:           8
        .value_kind:     global_buffer
      - .actual_access:  write_only
        .address_space:  global
        .offset:         16
        .size:           8
        .value_kind:     global_buffer
      - .offset:         24
        .size:           8
        .value_kind:     by_value
      - .offset:         32
        .size:           8
        .value_kind:     by_value
      - .offset:         40
        .size:           12
        .value_kind:     by_value
      - .offset:         56
        .size:           8
        .value_kind:     by_value
      - .offset:         64
        .size:           8
        .value_kind:     by_value
      - .offset:         72
        .size:           8
        .value_kind:     by_value
      - .offset:         80
        .size:           8
        .value_kind:     by_value
      - .offset:         88
        .size:           8
        .value_kind:     by_value
      - .offset:         96
        .size:           8
        .value_kind:     by_value
      - .offset:         104
        .size:           8
        .value_kind:     by_value
      - .offset:         112
        .size:           8
        .value_kind:     by_value
      - .offset:         120
        .size:           8
        .value_kind:     by_value
      - .offset:         128
        .size:           4
        .value_kind:     hidden_block_count_x
      - .offset:         132
        .size:           4
        .value_kind:     hidden_block_count_y
      - .offset:         136
        .size:           4
        .value_kind:     hidden_block_count_z
      - .offset:         140
        .size:           2
        .value_kind:     hidden_group_size_x
      - .offset:         142
        .size:           2
        .value_kind:     hidden_group_size_y
      - .offset:         144
        .size:           2
        .value_kind:     hidden_group_size_z
      - .offset:         146
        .size:           2
        .value_kind:     hidden_remainder_x
      - .offset:         148
        .size:           2
        .value_kind:     hidden_remainder_y
      - .offset:         150
        .size:           2
        .value_kind:     hidden_remainder_z
      - .offset:         168
        .size:           8
        .value_kind:     hidden_global_offset_x
      - .offset:         176
        .size:           8
        .value_kind:     hidden_global_offset_y
      - .offset:         184
        .size:           8
        .value_kind:     hidden_global_offset_z
      - .offset:         192
        .size:           2
        .value_kind:     hidden_grid_dims
    .group_segment_fixed_size: 0
    .kernarg_segment_align: 8
    .kernarg_segment_size: 384
    .language:       OpenCL C
    .language_version:
      - 2
      - 0
    .max_flat_workgroup_size: 1024
    .name:           _ZL10k_get_rowsILi32ELi2EXadL_ZL15dequantize_q5_0PKvliR15HIP_vector_typeIfLj2EEEE6__halfEvS1_PKiPT2_llS2_IjLj3EEmmmmmmmmm
    .private_segment_fixed_size: 0
    .sgpr_count:     56
    .sgpr_spill_count: 0
    .symbol:         _ZL10k_get_rowsILi32ELi2EXadL_ZL15dequantize_q5_0PKvliR15HIP_vector_typeIfLj2EEEE6__halfEvS1_PKiPT2_llS2_IjLj3EEmmmmmmmmm.kd
    .uniform_work_group_size: 1
    .uses_dynamic_stack: false
    .vgpr_count:     17
    .vgpr_spill_count: 0
    .wavefront_size: 32
  - .args:
      - .actual_access:  read_only
        .address_space:  global
        .offset:         0
        .size:           8
        .value_kind:     global_buffer
      - .actual_access:  read_only
        .address_space:  global
        .offset:         8
        .size:           8
        .value_kind:     global_buffer
      - .actual_access:  write_only
        .address_space:  global
        .offset:         16
        .size:           8
        .value_kind:     global_buffer
      - .offset:         24
        .size:           8
        .value_kind:     by_value
      - .offset:         32
        .size:           8
        .value_kind:     by_value
      - .offset:         40
        .size:           12
        .value_kind:     by_value
      - .offset:         56
        .size:           8
        .value_kind:     by_value
      - .offset:         64
        .size:           8
        .value_kind:     by_value
      - .offset:         72
        .size:           8
        .value_kind:     by_value
      - .offset:         80
        .size:           8
        .value_kind:     by_value
      - .offset:         88
        .size:           8
        .value_kind:     by_value
      - .offset:         96
        .size:           8
        .value_kind:     by_value
      - .offset:         104
        .size:           8
        .value_kind:     by_value
      - .offset:         112
        .size:           8
        .value_kind:     by_value
      - .offset:         120
        .size:           8
        .value_kind:     by_value
      - .offset:         128
        .size:           4
        .value_kind:     hidden_block_count_x
      - .offset:         132
        .size:           4
        .value_kind:     hidden_block_count_y
      - .offset:         136
        .size:           4
        .value_kind:     hidden_block_count_z
      - .offset:         140
        .size:           2
        .value_kind:     hidden_group_size_x
      - .offset:         142
        .size:           2
        .value_kind:     hidden_group_size_y
      - .offset:         144
        .size:           2
        .value_kind:     hidden_group_size_z
      - .offset:         146
        .size:           2
        .value_kind:     hidden_remainder_x
      - .offset:         148
        .size:           2
        .value_kind:     hidden_remainder_y
      - .offset:         150
        .size:           2
        .value_kind:     hidden_remainder_z
      - .offset:         168
        .size:           8
        .value_kind:     hidden_global_offset_x
      - .offset:         176
        .size:           8
        .value_kind:     hidden_global_offset_y
      - .offset:         184
        .size:           8
        .value_kind:     hidden_global_offset_z
      - .offset:         192
        .size:           2
        .value_kind:     hidden_grid_dims
    .group_segment_fixed_size: 0
    .kernarg_segment_align: 8
    .kernarg_segment_size: 384
    .language:       OpenCL C
    .language_version:
      - 2
      - 0
    .max_flat_workgroup_size: 1024
    .name:           _ZL10k_get_rowsILi32ELi2EXadL_ZL15dequantize_q5_1PKvliR15HIP_vector_typeIfLj2EEEE6__halfEvS1_PKiPT2_llS2_IjLj3EEmmmmmmmmm
    .private_segment_fixed_size: 0
    .sgpr_count:     56
    .sgpr_spill_count: 0
    .symbol:         _ZL10k_get_rowsILi32ELi2EXadL_ZL15dequantize_q5_1PKvliR15HIP_vector_typeIfLj2EEEE6__halfEvS1_PKiPT2_llS2_IjLj3EEmmmmmmmmm.kd
    .uniform_work_group_size: 1
    .uses_dynamic_stack: false
    .vgpr_count:     17
    .vgpr_spill_count: 0
    .wavefront_size: 32
  - .args:
      - .actual_access:  read_only
        .address_space:  global
        .offset:         0
        .size:           8
        .value_kind:     global_buffer
      - .actual_access:  read_only
        .address_space:  global
        .offset:         8
        .size:           8
        .value_kind:     global_buffer
      - .actual_access:  write_only
        .address_space:  global
        .offset:         16
        .size:           8
        .value_kind:     global_buffer
      - .offset:         24
        .size:           8
        .value_kind:     by_value
      - .offset:         32
        .size:           8
        .value_kind:     by_value
      - .offset:         40
        .size:           12
        .value_kind:     by_value
      - .offset:         56
        .size:           8
        .value_kind:     by_value
      - .offset:         64
        .size:           8
        .value_kind:     by_value
      - .offset:         72
        .size:           8
        .value_kind:     by_value
      - .offset:         80
        .size:           8
        .value_kind:     by_value
      - .offset:         88
        .size:           8
        .value_kind:     by_value
      - .offset:         96
        .size:           8
        .value_kind:     by_value
      - .offset:         104
        .size:           8
        .value_kind:     by_value
      - .offset:         112
        .size:           8
        .value_kind:     by_value
      - .offset:         120
        .size:           8
        .value_kind:     by_value
      - .offset:         128
        .size:           4
        .value_kind:     hidden_block_count_x
      - .offset:         132
        .size:           4
        .value_kind:     hidden_block_count_y
      - .offset:         136
        .size:           4
        .value_kind:     hidden_block_count_z
      - .offset:         140
        .size:           2
        .value_kind:     hidden_group_size_x
      - .offset:         142
        .size:           2
        .value_kind:     hidden_group_size_y
      - .offset:         144
        .size:           2
        .value_kind:     hidden_group_size_z
      - .offset:         146
        .size:           2
        .value_kind:     hidden_remainder_x
      - .offset:         148
        .size:           2
        .value_kind:     hidden_remainder_y
      - .offset:         150
        .size:           2
        .value_kind:     hidden_remainder_z
      - .offset:         168
        .size:           8
        .value_kind:     hidden_global_offset_x
      - .offset:         176
        .size:           8
        .value_kind:     hidden_global_offset_y
      - .offset:         184
        .size:           8
        .value_kind:     hidden_global_offset_z
      - .offset:         192
        .size:           2
        .value_kind:     hidden_grid_dims
    .group_segment_fixed_size: 0
    .kernarg_segment_align: 8
    .kernarg_segment_size: 384
    .language:       OpenCL C
    .language_version:
      - 2
      - 0
    .max_flat_workgroup_size: 1024
    .name:           _ZL10k_get_rowsILi32ELi1EXadL_ZL15dequantize_q8_0PKvliR15HIP_vector_typeIfLj2EEEE6__halfEvS1_PKiPT2_llS2_IjLj3EEmmmmmmmmm
    .private_segment_fixed_size: 0
    .sgpr_count:     58
    .sgpr_spill_count: 0
    .symbol:         _ZL10k_get_rowsILi32ELi1EXadL_ZL15dequantize_q8_0PKvliR15HIP_vector_typeIfLj2EEEE6__halfEvS1_PKiPT2_llS2_IjLj3EEmmmmmmmmm.kd
    .uniform_work_group_size: 1
    .uses_dynamic_stack: false
    .vgpr_count:     19
    .vgpr_spill_count: 0
    .wavefront_size: 32
  - .args:
      - .address_space:  global
        .offset:         0
        .size:           8
        .value_kind:     global_buffer
      - .address_space:  global
        .offset:         8
        .size:           8
        .value_kind:     global_buffer
      - .address_space:  global
        .offset:         16
        .size:           8
        .value_kind:     global_buffer
      - .offset:         24
        .size:           8
        .value_kind:     by_value
      - .offset:         32
        .size:           8
        .value_kind:     by_value
      - .offset:         40
        .size:           12
        .value_kind:     by_value
      - .offset:         56
        .size:           8
        .value_kind:     by_value
      - .offset:         64
        .size:           8
        .value_kind:     by_value
      - .offset:         72
        .size:           8
        .value_kind:     by_value
      - .offset:         80
        .size:           8
        .value_kind:     by_value
      - .offset:         88
        .size:           8
        .value_kind:     by_value
      - .offset:         96
        .size:           8
        .value_kind:     by_value
      - .offset:         104
        .size:           8
        .value_kind:     by_value
      - .offset:         112
        .size:           8
        .value_kind:     by_value
      - .offset:         120
        .size:           8
        .value_kind:     by_value
      - .offset:         128
        .size:           4
        .value_kind:     hidden_block_count_x
      - .offset:         132
        .size:           4
        .value_kind:     hidden_block_count_y
      - .offset:         136
        .size:           4
        .value_kind:     hidden_block_count_z
      - .offset:         140
        .size:           2
        .value_kind:     hidden_group_size_x
      - .offset:         142
        .size:           2
        .value_kind:     hidden_group_size_y
      - .offset:         144
        .size:           2
        .value_kind:     hidden_group_size_z
      - .offset:         146
        .size:           2
        .value_kind:     hidden_remainder_x
      - .offset:         148
        .size:           2
        .value_kind:     hidden_remainder_y
      - .offset:         150
        .size:           2
        .value_kind:     hidden_remainder_z
      - .offset:         168
        .size:           8
        .value_kind:     hidden_global_offset_x
      - .offset:         176
        .size:           8
        .value_kind:     hidden_global_offset_y
      - .offset:         184
        .size:           8
        .value_kind:     hidden_global_offset_z
      - .offset:         192
        .size:           2
        .value_kind:     hidden_grid_dims
    .group_segment_fixed_size: 0
    .kernarg_segment_align: 8
    .kernarg_segment_size: 384
    .language:       OpenCL C
    .language_version:
      - 2
      - 0
    .max_flat_workgroup_size: 1024
    .name:           _ZL16k_get_rows_floatI6__half14__hip_bfloat16EvPKT_PKiPT0_ll15HIP_vector_typeIjLj3EEmmmmmmmmm
    .private_segment_fixed_size: 0
    .sgpr_count:     52
    .sgpr_spill_count: 0
    .symbol:         _ZL16k_get_rows_floatI6__half14__hip_bfloat16EvPKT_PKiPT0_ll15HIP_vector_typeIjLj3EEmmmmmmmmm.kd
    .uniform_work_group_size: 1
    .uses_dynamic_stack: false
    .vgpr_count:     15
    .vgpr_spill_count: 0
    .wavefront_size: 32
  - .args:
      - .address_space:  global
        .offset:         0
        .size:           8
        .value_kind:     global_buffer
      - .address_space:  global
        .offset:         8
        .size:           8
        .value_kind:     global_buffer
      - .address_space:  global
        .offset:         16
        .size:           8
        .value_kind:     global_buffer
      - .offset:         24
        .size:           8
        .value_kind:     by_value
      - .offset:         32
        .size:           8
        .value_kind:     by_value
      - .offset:         40
        .size:           12
        .value_kind:     by_value
      - .offset:         56
        .size:           8
        .value_kind:     by_value
      - .offset:         64
        .size:           8
        .value_kind:     by_value
      - .offset:         72
        .size:           8
        .value_kind:     by_value
      - .offset:         80
        .size:           8
        .value_kind:     by_value
      - .offset:         88
        .size:           8
        .value_kind:     by_value
      - .offset:         96
        .size:           8
        .value_kind:     by_value
      - .offset:         104
        .size:           8
        .value_kind:     by_value
      - .offset:         112
        .size:           8
        .value_kind:     by_value
      - .offset:         120
        .size:           8
        .value_kind:     by_value
      - .offset:         128
        .size:           4
        .value_kind:     hidden_block_count_x
      - .offset:         132
        .size:           4
        .value_kind:     hidden_block_count_y
      - .offset:         136
        .size:           4
        .value_kind:     hidden_block_count_z
      - .offset:         140
        .size:           2
        .value_kind:     hidden_group_size_x
      - .offset:         142
        .size:           2
        .value_kind:     hidden_group_size_y
      - .offset:         144
        .size:           2
        .value_kind:     hidden_group_size_z
      - .offset:         146
        .size:           2
        .value_kind:     hidden_remainder_x
      - .offset:         148
        .size:           2
        .value_kind:     hidden_remainder_y
      - .offset:         150
        .size:           2
        .value_kind:     hidden_remainder_z
      - .offset:         168
        .size:           8
        .value_kind:     hidden_global_offset_x
      - .offset:         176
        .size:           8
        .value_kind:     hidden_global_offset_y
      - .offset:         184
        .size:           8
        .value_kind:     hidden_global_offset_z
      - .offset:         192
        .size:           2
        .value_kind:     hidden_grid_dims
    .group_segment_fixed_size: 0
    .kernarg_segment_align: 8
    .kernarg_segment_size: 384
    .language:       OpenCL C
    .language_version:
      - 2
      - 0
    .max_flat_workgroup_size: 1024
    .name:           _ZL16k_get_rows_floatIf14__hip_bfloat16EvPKT_PKiPT0_ll15HIP_vector_typeIjLj3EEmmmmmmmmm
    .private_segment_fixed_size: 0
    .sgpr_count:     52
    .sgpr_spill_count: 0
    .symbol:         _ZL16k_get_rows_floatIf14__hip_bfloat16EvPKT_PKiPT0_ll15HIP_vector_typeIjLj3EEmmmmmmmmm.kd
    .uniform_work_group_size: 1
    .uses_dynamic_stack: false
    .vgpr_count:     16
    .vgpr_spill_count: 0
    .wavefront_size: 32
  - .args:
      - .address_space:  global
        .offset:         0
        .size:           8
        .value_kind:     global_buffer
      - .address_space:  global
        .offset:         8
        .size:           8
        .value_kind:     global_buffer
      - .address_space:  global
        .offset:         16
        .size:           8
        .value_kind:     global_buffer
      - .offset:         24
        .size:           8
        .value_kind:     by_value
      - .offset:         32
        .size:           8
        .value_kind:     by_value
      - .offset:         40
        .size:           12
        .value_kind:     by_value
      - .offset:         56
        .size:           8
        .value_kind:     by_value
      - .offset:         64
        .size:           8
        .value_kind:     by_value
      - .offset:         72
        .size:           8
        .value_kind:     by_value
      - .offset:         80
        .size:           8
        .value_kind:     by_value
      - .offset:         88
        .size:           8
        .value_kind:     by_value
      - .offset:         96
        .size:           8
        .value_kind:     by_value
      - .offset:         104
        .size:           8
        .value_kind:     by_value
      - .offset:         112
        .size:           8
        .value_kind:     by_value
      - .offset:         120
        .size:           8
        .value_kind:     by_value
      - .offset:         128
        .size:           4
        .value_kind:     hidden_block_count_x
      - .offset:         132
        .size:           4
        .value_kind:     hidden_block_count_y
      - .offset:         136
        .size:           4
        .value_kind:     hidden_block_count_z
      - .offset:         140
        .size:           2
        .value_kind:     hidden_group_size_x
      - .offset:         142
        .size:           2
        .value_kind:     hidden_group_size_y
      - .offset:         144
        .size:           2
        .value_kind:     hidden_group_size_z
      - .offset:         146
        .size:           2
        .value_kind:     hidden_remainder_x
      - .offset:         148
        .size:           2
        .value_kind:     hidden_remainder_y
      - .offset:         150
        .size:           2
        .value_kind:     hidden_remainder_z
      - .offset:         168
        .size:           8
        .value_kind:     hidden_global_offset_x
      - .offset:         176
        .size:           8
        .value_kind:     hidden_global_offset_y
      - .offset:         184
        .size:           8
        .value_kind:     hidden_global_offset_z
      - .offset:         192
        .size:           2
        .value_kind:     hidden_grid_dims
    .group_segment_fixed_size: 0
    .kernarg_segment_align: 8
    .kernarg_segment_size: 384
    .language:       OpenCL C
    .language_version:
      - 2
      - 0
    .max_flat_workgroup_size: 1024
    .name:           _ZL16k_get_rows_floatIi14__hip_bfloat16EvPKT_PKiPT0_ll15HIP_vector_typeIjLj3EEmmmmmmmmm
    .private_segment_fixed_size: 0
    .sgpr_count:     52
    .sgpr_spill_count: 0
    .symbol:         _ZL16k_get_rows_floatIi14__hip_bfloat16EvPKT_PKiPT0_ll15HIP_vector_typeIjLj3EEmmmmmmmmm.kd
    .uniform_work_group_size: 1
    .uses_dynamic_stack: false
    .vgpr_count:     16
    .vgpr_spill_count: 0
    .wavefront_size: 32
  - .args:
      - .address_space:  global
        .offset:         0
        .size:           8
        .value_kind:     global_buffer
      - .address_space:  global
        .offset:         8
        .size:           8
        .value_kind:     global_buffer
      - .address_space:  global
        .offset:         16
        .size:           8
        .value_kind:     global_buffer
      - .offset:         24
        .size:           8
        .value_kind:     by_value
      - .offset:         32
        .size:           8
        .value_kind:     by_value
      - .offset:         40
        .size:           12
        .value_kind:     by_value
      - .offset:         56
        .size:           8
        .value_kind:     by_value
      - .offset:         64
        .size:           8
        .value_kind:     by_value
      - .offset:         72
        .size:           8
        .value_kind:     by_value
      - .offset:         80
        .size:           8
        .value_kind:     by_value
      - .offset:         88
        .size:           8
        .value_kind:     by_value
      - .offset:         96
        .size:           8
        .value_kind:     by_value
      - .offset:         104
        .size:           8
        .value_kind:     by_value
      - .offset:         112
        .size:           8
        .value_kind:     by_value
      - .offset:         120
        .size:           8
        .value_kind:     by_value
      - .offset:         128
        .size:           4
        .value_kind:     hidden_block_count_x
      - .offset:         132
        .size:           4
        .value_kind:     hidden_block_count_y
      - .offset:         136
        .size:           4
        .value_kind:     hidden_block_count_z
      - .offset:         140
        .size:           2
        .value_kind:     hidden_group_size_x
      - .offset:         142
        .size:           2
        .value_kind:     hidden_group_size_y
      - .offset:         144
        .size:           2
        .value_kind:     hidden_group_size_z
      - .offset:         146
        .size:           2
        .value_kind:     hidden_remainder_x
      - .offset:         148
        .size:           2
        .value_kind:     hidden_remainder_y
      - .offset:         150
        .size:           2
        .value_kind:     hidden_remainder_z
      - .offset:         168
        .size:           8
        .value_kind:     hidden_global_offset_x
      - .offset:         176
        .size:           8
        .value_kind:     hidden_global_offset_y
      - .offset:         184
        .size:           8
        .value_kind:     hidden_global_offset_z
      - .offset:         192
        .size:           2
        .value_kind:     hidden_grid_dims
    .group_segment_fixed_size: 0
    .kernarg_segment_align: 8
    .kernarg_segment_size: 384
    .language:       OpenCL C
    .language_version:
      - 2
      - 0
    .max_flat_workgroup_size: 1024
    .name:           _ZL16k_get_rows_floatI14__hip_bfloat16S0_EvPKT_PKiPT0_ll15HIP_vector_typeIjLj3EEmmmmmmmmm
    .private_segment_fixed_size: 0
    .sgpr_count:     52
    .sgpr_spill_count: 0
    .symbol:         _ZL16k_get_rows_floatI14__hip_bfloat16S0_EvPKT_PKiPT0_ll15HIP_vector_typeIjLj3EEmmmmmmmmm.kd
    .uniform_work_group_size: 1
    .uses_dynamic_stack: false
    .vgpr_count:     15
    .vgpr_spill_count: 0
    .wavefront_size: 32
  - .args:
      - .actual_access:  read_only
        .address_space:  global
        .offset:         0
        .size:           8
        .value_kind:     global_buffer
      - .actual_access:  read_only
        .address_space:  global
        .offset:         8
        .size:           8
        .value_kind:     global_buffer
      - .actual_access:  write_only
        .address_space:  global
        .offset:         16
        .size:           8
        .value_kind:     global_buffer
      - .offset:         24
        .size:           8
        .value_kind:     by_value
      - .offset:         32
        .size:           8
        .value_kind:     by_value
      - .offset:         40
        .size:           12
        .value_kind:     by_value
      - .offset:         56
        .size:           8
        .value_kind:     by_value
      - .offset:         64
        .size:           8
        .value_kind:     by_value
      - .offset:         72
        .size:           8
        .value_kind:     by_value
      - .offset:         80
        .size:           8
        .value_kind:     by_value
      - .offset:         88
        .size:           8
        .value_kind:     by_value
      - .offset:         96
        .size:           8
        .value_kind:     by_value
      - .offset:         104
        .size:           8
        .value_kind:     by_value
      - .offset:         112
        .size:           8
        .value_kind:     by_value
      - .offset:         120
        .size:           8
        .value_kind:     by_value
      - .offset:         128
        .size:           4
        .value_kind:     hidden_block_count_x
      - .offset:         132
        .size:           4
        .value_kind:     hidden_block_count_y
      - .offset:         136
        .size:           4
        .value_kind:     hidden_block_count_z
      - .offset:         140
        .size:           2
        .value_kind:     hidden_group_size_x
      - .offset:         142
        .size:           2
        .value_kind:     hidden_group_size_y
      - .offset:         144
        .size:           2
        .value_kind:     hidden_group_size_z
      - .offset:         146
        .size:           2
        .value_kind:     hidden_remainder_x
      - .offset:         148
        .size:           2
        .value_kind:     hidden_remainder_y
      - .offset:         150
        .size:           2
        .value_kind:     hidden_remainder_z
      - .offset:         168
        .size:           8
        .value_kind:     hidden_global_offset_x
      - .offset:         176
        .size:           8
        .value_kind:     hidden_global_offset_y
      - .offset:         184
        .size:           8
        .value_kind:     hidden_global_offset_z
      - .offset:         192
        .size:           2
        .value_kind:     hidden_grid_dims
    .group_segment_fixed_size: 0
    .kernarg_segment_align: 8
    .kernarg_segment_size: 384
    .language:       OpenCL C
    .language_version:
      - 2
      - 0
    .max_flat_workgroup_size: 1024
    .name:           _ZL10k_get_rowsILi128ELi1EXadL_ZL15dequantize_q1_0PKvliR15HIP_vector_typeIfLj2EEEE14__hip_bfloat16EvS1_PKiPT2_llS2_IjLj3EEmmmmmmmmm
    .private_segment_fixed_size: 0
    .sgpr_count:     58
    .sgpr_spill_count: 0
    .symbol:         _ZL10k_get_rowsILi128ELi1EXadL_ZL15dequantize_q1_0PKvliR15HIP_vector_typeIfLj2EEEE14__hip_bfloat16EvS1_PKiPT2_llS2_IjLj3EEmmmmmmmmm.kd
    .uniform_work_group_size: 1
    .uses_dynamic_stack: false
    .vgpr_count:     23
    .vgpr_spill_count: 0
    .wavefront_size: 32
  - .args:
      - .actual_access:  read_only
        .address_space:  global
        .offset:         0
        .size:           8
        .value_kind:     global_buffer
      - .actual_access:  read_only
        .address_space:  global
        .offset:         8
        .size:           8
        .value_kind:     global_buffer
      - .actual_access:  write_only
        .address_space:  global
        .offset:         16
        .size:           8
        .value_kind:     global_buffer
      - .offset:         24
        .size:           8
        .value_kind:     by_value
      - .offset:         32
        .size:           8
        .value_kind:     by_value
      - .offset:         40
        .size:           12
        .value_kind:     by_value
      - .offset:         56
        .size:           8
        .value_kind:     by_value
      - .offset:         64
        .size:           8
        .value_kind:     by_value
      - .offset:         72
        .size:           8
        .value_kind:     by_value
      - .offset:         80
        .size:           8
        .value_kind:     by_value
      - .offset:         88
        .size:           8
        .value_kind:     by_value
      - .offset:         96
        .size:           8
        .value_kind:     by_value
      - .offset:         104
        .size:           8
        .value_kind:     by_value
      - .offset:         112
        .size:           8
        .value_kind:     by_value
      - .offset:         120
        .size:           8
        .value_kind:     by_value
      - .offset:         128
        .size:           4
        .value_kind:     hidden_block_count_x
      - .offset:         132
        .size:           4
        .value_kind:     hidden_block_count_y
      - .offset:         136
        .size:           4
        .value_kind:     hidden_block_count_z
      - .offset:         140
        .size:           2
        .value_kind:     hidden_group_size_x
      - .offset:         142
        .size:           2
        .value_kind:     hidden_group_size_y
      - .offset:         144
        .size:           2
        .value_kind:     hidden_group_size_z
      - .offset:         146
        .size:           2
        .value_kind:     hidden_remainder_x
      - .offset:         148
        .size:           2
        .value_kind:     hidden_remainder_y
      - .offset:         150
        .size:           2
        .value_kind:     hidden_remainder_z
      - .offset:         168
        .size:           8
        .value_kind:     hidden_global_offset_x
      - .offset:         176
        .size:           8
        .value_kind:     hidden_global_offset_y
      - .offset:         184
        .size:           8
        .value_kind:     hidden_global_offset_z
      - .offset:         192
        .size:           2
        .value_kind:     hidden_grid_dims
    .group_segment_fixed_size: 0
    .kernarg_segment_align: 8
    .kernarg_segment_size: 384
    .language:       OpenCL C
    .language_version:
      - 2
      - 0
    .max_flat_workgroup_size: 1024
    .name:           _ZL10k_get_rowsILi32ELi2EXadL_ZL15dequantize_q4_0PKvliR15HIP_vector_typeIfLj2EEEE14__hip_bfloat16EvS1_PKiPT2_llS2_IjLj3EEmmmmmmmmm
    .private_segment_fixed_size: 0
    .sgpr_count:     56
    .sgpr_spill_count: 0
    .symbol:         _ZL10k_get_rowsILi32ELi2EXadL_ZL15dequantize_q4_0PKvliR15HIP_vector_typeIfLj2EEEE14__hip_bfloat16EvS1_PKiPT2_llS2_IjLj3EEmmmmmmmmm.kd
    .uniform_work_group_size: 1
    .uses_dynamic_stack: false
    .vgpr_count:     16
    .vgpr_spill_count: 0
    .wavefront_size: 32
  - .args:
      - .actual_access:  read_only
        .address_space:  global
        .offset:         0
        .size:           8
        .value_kind:     global_buffer
      - .actual_access:  read_only
        .address_space:  global
        .offset:         8
        .size:           8
        .value_kind:     global_buffer
      - .actual_access:  write_only
        .address_space:  global
        .offset:         16
        .size:           8
        .value_kind:     global_buffer
      - .offset:         24
        .size:           8
        .value_kind:     by_value
      - .offset:         32
        .size:           8
        .value_kind:     by_value
      - .offset:         40
        .size:           12
        .value_kind:     by_value
      - .offset:         56
        .size:           8
        .value_kind:     by_value
      - .offset:         64
        .size:           8
        .value_kind:     by_value
      - .offset:         72
        .size:           8
        .value_kind:     by_value
      - .offset:         80
        .size:           8
        .value_kind:     by_value
      - .offset:         88
        .size:           8
        .value_kind:     by_value
      - .offset:         96
        .size:           8
        .value_kind:     by_value
      - .offset:         104
        .size:           8
        .value_kind:     by_value
      - .offset:         112
        .size:           8
        .value_kind:     by_value
      - .offset:         120
        .size:           8
        .value_kind:     by_value
      - .offset:         128
        .size:           4
        .value_kind:     hidden_block_count_x
      - .offset:         132
        .size:           4
        .value_kind:     hidden_block_count_y
      - .offset:         136
        .size:           4
        .value_kind:     hidden_block_count_z
      - .offset:         140
        .size:           2
        .value_kind:     hidden_group_size_x
      - .offset:         142
        .size:           2
        .value_kind:     hidden_group_size_y
      - .offset:         144
        .size:           2
        .value_kind:     hidden_group_size_z
      - .offset:         146
        .size:           2
        .value_kind:     hidden_remainder_x
      - .offset:         148
        .size:           2
        .value_kind:     hidden_remainder_y
      - .offset:         150
        .size:           2
        .value_kind:     hidden_remainder_z
      - .offset:         168
        .size:           8
        .value_kind:     hidden_global_offset_x
      - .offset:         176
        .size:           8
        .value_kind:     hidden_global_offset_y
      - .offset:         184
        .size:           8
        .value_kind:     hidden_global_offset_z
      - .offset:         192
        .size:           2
        .value_kind:     hidden_grid_dims
    .group_segment_fixed_size: 0
    .kernarg_segment_align: 8
    .kernarg_segment_size: 384
    .language:       OpenCL C
    .language_version:
      - 2
      - 0
    .max_flat_workgroup_size: 1024
    .name:           _ZL10k_get_rowsILi32ELi2EXadL_ZL15dequantize_q4_1PKvliR15HIP_vector_typeIfLj2EEEE14__hip_bfloat16EvS1_PKiPT2_llS2_IjLj3EEmmmmmmmmm
    .private_segment_fixed_size: 0
    .sgpr_count:     56
    .sgpr_spill_count: 0
    .symbol:         _ZL10k_get_rowsILi32ELi2EXadL_ZL15dequantize_q4_1PKvliR15HIP_vector_typeIfLj2EEEE14__hip_bfloat16EvS1_PKiPT2_llS2_IjLj3EEmmmmmmmmm.kd
    .uniform_work_group_size: 1
    .uses_dynamic_stack: false
    .vgpr_count:     16
    .vgpr_spill_count: 0
    .wavefront_size: 32
  - .args:
      - .actual_access:  read_only
        .address_space:  global
        .offset:         0
        .size:           8
        .value_kind:     global_buffer
      - .actual_access:  read_only
        .address_space:  global
        .offset:         8
        .size:           8
        .value_kind:     global_buffer
      - .actual_access:  write_only
        .address_space:  global
        .offset:         16
        .size:           8
        .value_kind:     global_buffer
      - .offset:         24
        .size:           8
        .value_kind:     by_value
      - .offset:         32
        .size:           8
        .value_kind:     by_value
      - .offset:         40
        .size:           12
        .value_kind:     by_value
      - .offset:         56
        .size:           8
        .value_kind:     by_value
      - .offset:         64
        .size:           8
        .value_kind:     by_value
      - .offset:         72
        .size:           8
        .value_kind:     by_value
      - .offset:         80
        .size:           8
        .value_kind:     by_value
      - .offset:         88
        .size:           8
        .value_kind:     by_value
      - .offset:         96
        .size:           8
        .value_kind:     by_value
      - .offset:         104
        .size:           8
        .value_kind:     by_value
      - .offset:         112
        .size:           8
        .value_kind:     by_value
      - .offset:         120
        .size:           8
        .value_kind:     by_value
      - .offset:         128
        .size:           4
        .value_kind:     hidden_block_count_x
      - .offset:         132
        .size:           4
        .value_kind:     hidden_block_count_y
      - .offset:         136
        .size:           4
        .value_kind:     hidden_block_count_z
      - .offset:         140
        .size:           2
        .value_kind:     hidden_group_size_x
      - .offset:         142
        .size:           2
        .value_kind:     hidden_group_size_y
      - .offset:         144
        .size:           2
        .value_kind:     hidden_group_size_z
      - .offset:         146
        .size:           2
        .value_kind:     hidden_remainder_x
      - .offset:         148
        .size:           2
        .value_kind:     hidden_remainder_y
      - .offset:         150
        .size:           2
        .value_kind:     hidden_remainder_z
      - .offset:         168
        .size:           8
        .value_kind:     hidden_global_offset_x
      - .offset:         176
        .size:           8
        .value_kind:     hidden_global_offset_y
      - .offset:         184
        .size:           8
        .value_kind:     hidden_global_offset_z
      - .offset:         192
        .size:           2
        .value_kind:     hidden_grid_dims
    .group_segment_fixed_size: 0
    .kernarg_segment_align: 8
    .kernarg_segment_size: 384
    .language:       OpenCL C
    .language_version:
      - 2
      - 0
    .max_flat_workgroup_size: 1024
    .name:           _ZL10k_get_rowsILi32ELi2EXadL_ZL15dequantize_q5_0PKvliR15HIP_vector_typeIfLj2EEEE14__hip_bfloat16EvS1_PKiPT2_llS2_IjLj3EEmmmmmmmmm
    .private_segment_fixed_size: 0
    .sgpr_count:     56
    .sgpr_spill_count: 0
    .symbol:         _ZL10k_get_rowsILi32ELi2EXadL_ZL15dequantize_q5_0PKvliR15HIP_vector_typeIfLj2EEEE14__hip_bfloat16EvS1_PKiPT2_llS2_IjLj3EEmmmmmmmmm.kd
    .uniform_work_group_size: 1
    .uses_dynamic_stack: false
    .vgpr_count:     17
    .vgpr_spill_count: 0
    .wavefront_size: 32
  - .args:
      - .actual_access:  read_only
        .address_space:  global
        .offset:         0
        .size:           8
        .value_kind:     global_buffer
      - .actual_access:  read_only
        .address_space:  global
        .offset:         8
        .size:           8
        .value_kind:     global_buffer
      - .actual_access:  write_only
        .address_space:  global
        .offset:         16
        .size:           8
        .value_kind:     global_buffer
      - .offset:         24
        .size:           8
        .value_kind:     by_value
      - .offset:         32
        .size:           8
        .value_kind:     by_value
      - .offset:         40
        .size:           12
        .value_kind:     by_value
      - .offset:         56
        .size:           8
        .value_kind:     by_value
      - .offset:         64
        .size:           8
        .value_kind:     by_value
      - .offset:         72
        .size:           8
        .value_kind:     by_value
      - .offset:         80
        .size:           8
        .value_kind:     by_value
      - .offset:         88
        .size:           8
        .value_kind:     by_value
      - .offset:         96
        .size:           8
        .value_kind:     by_value
      - .offset:         104
        .size:           8
        .value_kind:     by_value
      - .offset:         112
        .size:           8
        .value_kind:     by_value
      - .offset:         120
        .size:           8
        .value_kind:     by_value
      - .offset:         128
        .size:           4
        .value_kind:     hidden_block_count_x
      - .offset:         132
        .size:           4
        .value_kind:     hidden_block_count_y
      - .offset:         136
        .size:           4
        .value_kind:     hidden_block_count_z
      - .offset:         140
        .size:           2
        .value_kind:     hidden_group_size_x
      - .offset:         142
        .size:           2
        .value_kind:     hidden_group_size_y
      - .offset:         144
        .size:           2
        .value_kind:     hidden_group_size_z
      - .offset:         146
        .size:           2
        .value_kind:     hidden_remainder_x
      - .offset:         148
        .size:           2
        .value_kind:     hidden_remainder_y
      - .offset:         150
        .size:           2
        .value_kind:     hidden_remainder_z
      - .offset:         168
        .size:           8
        .value_kind:     hidden_global_offset_x
      - .offset:         176
        .size:           8
        .value_kind:     hidden_global_offset_y
      - .offset:         184
        .size:           8
        .value_kind:     hidden_global_offset_z
      - .offset:         192
        .size:           2
        .value_kind:     hidden_grid_dims
    .group_segment_fixed_size: 0
    .kernarg_segment_align: 8
    .kernarg_segment_size: 384
    .language:       OpenCL C
    .language_version:
      - 2
      - 0
    .max_flat_workgroup_size: 1024
    .name:           _ZL10k_get_rowsILi32ELi2EXadL_ZL15dequantize_q5_1PKvliR15HIP_vector_typeIfLj2EEEE14__hip_bfloat16EvS1_PKiPT2_llS2_IjLj3EEmmmmmmmmm
    .private_segment_fixed_size: 0
    .sgpr_count:     56
    .sgpr_spill_count: 0
    .symbol:         _ZL10k_get_rowsILi32ELi2EXadL_ZL15dequantize_q5_1PKvliR15HIP_vector_typeIfLj2EEEE14__hip_bfloat16EvS1_PKiPT2_llS2_IjLj3EEmmmmmmmmm.kd
    .uniform_work_group_size: 1
    .uses_dynamic_stack: false
    .vgpr_count:     17
    .vgpr_spill_count: 0
    .wavefront_size: 32
  - .args:
      - .actual_access:  read_only
        .address_space:  global
        .offset:         0
        .size:           8
        .value_kind:     global_buffer
      - .actual_access:  read_only
        .address_space:  global
        .offset:         8
        .size:           8
        .value_kind:     global_buffer
      - .actual_access:  write_only
        .address_space:  global
        .offset:         16
        .size:           8
        .value_kind:     global_buffer
      - .offset:         24
        .size:           8
        .value_kind:     by_value
      - .offset:         32
        .size:           8
        .value_kind:     by_value
      - .offset:         40
        .size:           12
        .value_kind:     by_value
      - .offset:         56
        .size:           8
        .value_kind:     by_value
      - .offset:         64
        .size:           8
        .value_kind:     by_value
      - .offset:         72
        .size:           8
        .value_kind:     by_value
      - .offset:         80
        .size:           8
        .value_kind:     by_value
      - .offset:         88
        .size:           8
        .value_kind:     by_value
      - .offset:         96
        .size:           8
        .value_kind:     by_value
      - .offset:         104
        .size:           8
        .value_kind:     by_value
      - .offset:         112
        .size:           8
        .value_kind:     by_value
      - .offset:         120
        .size:           8
        .value_kind:     by_value
      - .offset:         128
        .size:           4
        .value_kind:     hidden_block_count_x
      - .offset:         132
        .size:           4
        .value_kind:     hidden_block_count_y
      - .offset:         136
        .size:           4
        .value_kind:     hidden_block_count_z
      - .offset:         140
        .size:           2
        .value_kind:     hidden_group_size_x
      - .offset:         142
        .size:           2
        .value_kind:     hidden_group_size_y
      - .offset:         144
        .size:           2
        .value_kind:     hidden_group_size_z
      - .offset:         146
        .size:           2
        .value_kind:     hidden_remainder_x
      - .offset:         148
        .size:           2
        .value_kind:     hidden_remainder_y
      - .offset:         150
        .size:           2
        .value_kind:     hidden_remainder_z
      - .offset:         168
        .size:           8
        .value_kind:     hidden_global_offset_x
      - .offset:         176
        .size:           8
        .value_kind:     hidden_global_offset_y
      - .offset:         184
        .size:           8
        .value_kind:     hidden_global_offset_z
      - .offset:         192
        .size:           2
        .value_kind:     hidden_grid_dims
    .group_segment_fixed_size: 0
    .kernarg_segment_align: 8
    .kernarg_segment_size: 384
    .language:       OpenCL C
    .language_version:
      - 2
      - 0
    .max_flat_workgroup_size: 1024
    .name:           _ZL10k_get_rowsILi32ELi1EXadL_ZL15dequantize_q8_0PKvliR15HIP_vector_typeIfLj2EEEE14__hip_bfloat16EvS1_PKiPT2_llS2_IjLj3EEmmmmmmmmm
    .private_segment_fixed_size: 0
    .sgpr_count:     58
    .sgpr_spill_count: 0
    .symbol:         _ZL10k_get_rowsILi32ELi1EXadL_ZL15dequantize_q8_0PKvliR15HIP_vector_typeIfLj2EEEE14__hip_bfloat16EvS1_PKiPT2_llS2_IjLj3EEmmmmmmmmm.kd
    .uniform_work_group_size: 1
    .uses_dynamic_stack: false
    .vgpr_count:     19
    .vgpr_spill_count: 0
    .wavefront_size: 32
  - .args:
      - .actual_access:  read_only
        .address_space:  global
        .offset:         0
        .size:           8
        .value_kind:     global_buffer
      - .actual_access:  read_only
        .address_space:  global
        .offset:         8
        .size:           8
        .value_kind:     global_buffer
      - .actual_access:  write_only
        .address_space:  global
        .offset:         16
        .size:           8
        .value_kind:     global_buffer
      - .offset:         24
        .size:           8
        .value_kind:     by_value
      - .offset:         32
        .size:           8
        .value_kind:     by_value
      - .offset:         40
        .size:           4
        .value_kind:     hidden_block_count_x
      - .offset:         44
        .size:           4
        .value_kind:     hidden_block_count_y
      - .offset:         48
        .size:           4
        .value_kind:     hidden_block_count_z
      - .offset:         52
        .size:           2
        .value_kind:     hidden_group_size_x
      - .offset:         54
        .size:           2
        .value_kind:     hidden_group_size_y
      - .offset:         56
        .size:           2
        .value_kind:     hidden_group_size_z
      - .offset:         58
        .size:           2
        .value_kind:     hidden_remainder_x
      - .offset:         60
        .size:           2
        .value_kind:     hidden_remainder_y
      - .offset:         62
        .size:           2
        .value_kind:     hidden_remainder_z
      - .offset:         80
        .size:           8
        .value_kind:     hidden_global_offset_x
      - .offset:         88
        .size:           8
        .value_kind:     hidden_global_offset_y
      - .offset:         96
        .size:           8
        .value_kind:     hidden_global_offset_z
      - .offset:         104
        .size:           2
        .value_kind:     hidden_grid_dims
    .group_segment_fixed_size: 0
    .kernarg_segment_align: 8
    .kernarg_segment_size: 296
    .language:       OpenCL C
    .language_version:
      - 2
      - 0
    .max_flat_workgroup_size: 1024
    .name:           _ZL21k_get_rows_back_floatIffEvPKT_PKiPT0_ll
    .private_segment_fixed_size: 0
    .sgpr_count:     14
    .sgpr_spill_count: 0
    .symbol:         _ZL21k_get_rows_back_floatIffEvPKT_PKiPT0_ll.kd
    .uniform_work_group_size: 1
    .uses_dynamic_stack: false
    .vgpr_count:     7
    .vgpr_spill_count: 0
    .wavefront_size: 32
amdhsa.target:   amdgcn-amd-amdhsa--gfx1250
amdhsa.version:
  - 1
  - 2
...

	.end_amdgpu_metadata
